;; amdgpu-corpus repo=ROCm/rocFFT kind=compiled arch=gfx1201 opt=O3
	.text
	.amdgcn_target "amdgcn-amd-amdhsa--gfx1201"
	.amdhsa_code_object_version 6
	.protected	bluestein_single_fwd_len2400_dim1_half_op_CI_CI ; -- Begin function bluestein_single_fwd_len2400_dim1_half_op_CI_CI
	.globl	bluestein_single_fwd_len2400_dim1_half_op_CI_CI
	.p2align	8
	.type	bluestein_single_fwd_len2400_dim1_half_op_CI_CI,@function
bluestein_single_fwd_len2400_dim1_half_op_CI_CI: ; @bluestein_single_fwd_len2400_dim1_half_op_CI_CI
; %bb.0:
	s_load_b128 s[8:11], s[0:1], 0x28
	v_mul_u32_u24_e32 v1, 0x112, v0
	s_mov_b32 s2, exec_lo
	v_mov_b32_e32 v29, 0
	s_delay_alu instid0(VALU_DEP_2) | instskip(NEXT) | instid1(VALU_DEP_1)
	v_lshrrev_b32_e32 v1, 16, v1
	v_add_nc_u32_e32 v28, ttmp9, v1
	s_wait_kmcnt 0x0
	s_delay_alu instid0(VALU_DEP_1)
	v_cmpx_gt_u64_e64 s[8:9], v[28:29]
	s_cbranch_execz .LBB0_25
; %bb.1:
	s_clause 0x1
	s_load_b128 s[4:7], s[0:1], 0x18
	s_load_b64 s[16:17], s[0:1], 0x0
	v_mul_lo_u16 v1, 0xf0, v1
	s_delay_alu instid0(VALU_DEP_1) | instskip(NEXT) | instid1(VALU_DEP_1)
	v_sub_nc_u16 v7, v0, v1
	v_and_b32_e32 v45, 0xffff, v7
	s_delay_alu instid0(VALU_DEP_1)
	v_lshlrev_b32_e32 v35, 2, v45
	s_wait_kmcnt 0x0
	s_load_b128 s[12:15], s[4:5], 0x0
	s_clause 0x7
	global_load_b32 v47, v35, s[16:17]
	global_load_b32 v36, v35, s[16:17] offset:8160
	global_load_b32 v44, v35, s[16:17] offset:7200
	;; [unrolled: 1-line block ×7, first 2 shown]
	s_wait_kmcnt 0x0
	v_mad_co_u64_u32 v[0:1], null, s14, v28, 0
	v_mad_co_u64_u32 v[2:3], null, s12, v45, 0
	s_mul_u64 s[2:3], s[12:13], 0x258
	s_delay_alu instid0(VALU_DEP_1) | instskip(SKIP_3) | instid1(SALU_CYCLE_1)
	v_mad_co_u64_u32 v[4:5], null, s15, v28, v[1:2]
	s_lshl_b64 s[14:15], s[2:3], 2
	s_movk_i32 s2, 0xf9e8
	s_mov_b32 s3, -1
	s_mul_u64 s[2:3], s[12:13], s[2:3]
	s_delay_alu instid0(VALU_DEP_1) | instskip(SKIP_3) | instid1(VALU_DEP_1)
	v_mad_co_u64_u32 v[5:6], null, s13, v45, v[3:4]
	v_mov_b32_e32 v1, v4
	s_lshl_b64 s[12:13], s[2:3], 2
	v_add_co_u32 v26, s2, s16, v35
	v_add_co_ci_u32_e64 v27, null, s17, 0, s2
	s_delay_alu instid0(VALU_DEP_4) | instskip(SKIP_2) | instid1(VALU_DEP_3)
	v_mov_b32_e32 v3, v5
	v_lshlrev_b64_e32 v[0:1], 2, v[0:1]
	v_cmp_lt_u16_e64 s2, 0x77, v7
	v_lshlrev_b64_e32 v[2:3], 2, v[2:3]
	s_delay_alu instid0(VALU_DEP_3) | instskip(NEXT) | instid1(VALU_DEP_4)
	v_add_co_u32 v0, vcc_lo, s10, v0
	v_add_co_ci_u32_e32 v1, vcc_lo, s11, v1, vcc_lo
	s_delay_alu instid0(VALU_DEP_2) | instskip(SKIP_1) | instid1(VALU_DEP_2)
	v_add_co_u32 v0, vcc_lo, v0, v2
	s_wait_alu 0xfffd
	v_add_co_ci_u32_e32 v1, vcc_lo, v1, v3, vcc_lo
	s_wait_alu 0xfffe
	s_delay_alu instid0(VALU_DEP_2) | instskip(SKIP_1) | instid1(VALU_DEP_2)
	v_add_co_u32 v2, vcc_lo, v0, s14
	s_wait_alu 0xfffd
	v_add_co_ci_u32_e32 v3, vcc_lo, s15, v1, vcc_lo
	s_clause 0x1
	global_load_b32 v4, v[0:1], off
	global_load_b32 v5, v[2:3], off
	v_add_co_u32 v0, vcc_lo, v2, s14
	s_wait_alu 0xfffd
	v_add_co_ci_u32_e32 v1, vcc_lo, s15, v3, vcc_lo
	global_load_b32 v6, v[0:1], off
	v_add_co_u32 v0, vcc_lo, v0, s14
	s_wait_alu 0xfffd
	v_add_co_ci_u32_e32 v1, vcc_lo, s15, v1, vcc_lo
	s_delay_alu instid0(VALU_DEP_2) | instskip(SKIP_1) | instid1(VALU_DEP_2)
	v_add_co_u32 v2, vcc_lo, v0, s12
	s_wait_alu 0xfffd
	v_add_co_ci_u32_e32 v3, vcc_lo, s13, v1, vcc_lo
	s_clause 0x1
	global_load_b32 v8, v[0:1], off
	global_load_b32 v9, v[2:3], off
	v_add_co_u32 v0, vcc_lo, v2, s14
	s_wait_alu 0xfffd
	v_add_co_ci_u32_e32 v1, vcc_lo, s15, v3, vcc_lo
	s_delay_alu instid0(VALU_DEP_2) | instskip(SKIP_1) | instid1(VALU_DEP_2)
	v_add_co_u32 v2, vcc_lo, v0, s14
	s_wait_alu 0xfffd
	v_add_co_ci_u32_e32 v3, vcc_lo, s15, v1, vcc_lo
	global_load_b32 v10, v[0:1], off
	v_add_co_u32 v0, vcc_lo, v2, s14
	s_wait_alu 0xfffd
	v_add_co_ci_u32_e32 v1, vcc_lo, s15, v3, vcc_lo
	global_load_b32 v2, v[2:3], off
	global_load_b32 v3, v[0:1], off
	s_load_b64 s[4:5], s[0:1], 0x38
	s_load_b128 s[8:11], s[6:7], 0x0
	v_cmp_gt_u16_e32 vcc_lo, 0x78, v7
	s_wait_loadcnt 0xb
	v_lshrrev_b32_e32 v49, 16, v48
	v_lshrrev_b32_e32 v52, 16, v47
	s_wait_loadcnt 0x9
	v_lshrrev_b32_e32 v51, 16, v50
	v_lshrrev_b32_e32 v46, 16, v44
	s_wait_loadcnt 0x8
	v_lshrrev_b32_e32 v43, 16, v42
	v_lshrrev_b32_e32 v41, 16, v40
	v_lshrrev_b32_e32 v39, 16, v38
	v_lshrrev_b32_e32 v37, 16, v36
	s_wait_loadcnt 0x7
	v_lshrrev_b32_e32 v11, 16, v4
	v_mul_f16_e32 v12, v52, v4
	s_wait_loadcnt 0x6
	v_lshrrev_b32_e32 v14, 16, v5
	v_mul_f16_e32 v15, v51, v5
	v_mul_f16_e32 v13, v52, v11
	v_fma_f16 v11, v47, v11, -v12
	s_delay_alu instid0(VALU_DEP_2)
	v_fmac_f16_e32 v13, v47, v4
	v_mul_f16_e32 v4, v51, v14
	s_wait_loadcnt 0x5
	v_lshrrev_b32_e32 v12, 16, v6
	v_fma_f16 v14, v50, v14, -v15
	v_mul_f16_e32 v15, v49, v6
	v_pack_b32_f16 v11, v13, v11
	v_fmac_f16_e32 v4, v50, v5
	v_mul_f16_e32 v5, v49, v12
	s_delay_alu instid0(VALU_DEP_4)
	v_fma_f16 v12, v48, v12, -v15
	s_wait_loadcnt 0x4
	v_lshrrev_b32_e32 v13, 16, v8
	v_pack_b32_f16 v4, v4, v14
	v_fmac_f16_e32 v5, v48, v6
	s_wait_loadcnt 0x3
	v_lshrrev_b32_e32 v14, 16, v9
	v_mul_f16_e32 v15, v46, v8
	v_mul_f16_e32 v6, v46, v13
	v_mul_f16_e32 v16, v43, v9
	v_pack_b32_f16 v5, v5, v12
	s_delay_alu instid0(VALU_DEP_4) | instskip(NEXT) | instid1(VALU_DEP_4)
	v_fma_f16 v13, v44, v13, -v15
	v_fmac_f16_e32 v6, v44, v8
	v_mul_f16_e32 v8, v43, v14
	v_fma_f16 v12, v42, v14, -v16
	s_wait_loadcnt 0x2
	v_lshrrev_b32_e32 v14, 16, v10
	v_mul_f16_e32 v15, v41, v10
	v_pack_b32_f16 v6, v6, v13
	v_fmac_f16_e32 v8, v42, v9
	ds_store_b32 v35, v4 offset:2400
	ds_store_b32 v35, v5 offset:4800
	;; [unrolled: 1-line block ×3, first 2 shown]
	s_wait_loadcnt 0x1
	v_lshrrev_b32_e32 v9, 16, v2
	s_wait_loadcnt 0x0
	v_lshrrev_b32_e32 v16, 16, v3
	v_mul_f16_e32 v13, v41, v14
	v_fma_f16 v14, v40, v14, -v15
	v_mul_f16_e32 v15, v39, v2
	v_mul_f16_e32 v17, v39, v9
	;; [unrolled: 1-line block ×4, first 2 shown]
	v_fmac_f16_e32 v13, v40, v10
	v_fma_f16 v9, v38, v9, -v15
	v_fmac_f16_e32 v17, v38, v2
	v_fma_f16 v2, v36, v16, -v18
	v_fmac_f16_e32 v19, v36, v3
	v_pack_b32_f16 v3, v8, v12
	v_pack_b32_f16 v4, v13, v14
	;; [unrolled: 1-line block ×3, first 2 shown]
	s_delay_alu instid0(VALU_DEP_4)
	v_pack_b32_f16 v2, v19, v2
	ds_store_2addr_b32 v35, v11, v3 offset1:240
	ds_store_b32 v35, v4 offset:3360
	ds_store_b32 v35, v5 offset:5760
	;; [unrolled: 1-line block ×3, first 2 shown]
	s_and_saveexec_b32 s6, vcc_lo
	s_cbranch_execz .LBB0_3
; %bb.2:
	v_add_co_u32 v0, s3, v0, s12
	s_wait_alu 0xf1ff
	v_add_co_ci_u32_e64 v1, s3, s13, v1, s3
	global_load_b32 v7, v[26:27], off offset:1920
	global_load_b32 v6, v[0:1], off
	v_add_co_u32 v0, s3, v0, s14
	s_wait_alu 0xf1ff
	v_add_co_ci_u32_e64 v1, s3, s15, v1, s3
	s_clause 0x2
	global_load_b32 v8, v[26:27], off offset:4320
	global_load_b32 v9, v[26:27], off offset:6720
	;; [unrolled: 1-line block ×3, first 2 shown]
	v_add_co_u32 v2, s3, v0, s14
	s_wait_alu 0xf1ff
	v_add_co_ci_u32_e64 v3, s3, s15, v1, s3
	s_delay_alu instid0(VALU_DEP_2) | instskip(SKIP_1) | instid1(VALU_DEP_2)
	v_add_co_u32 v4, s3, v2, s14
	s_wait_alu 0xf1ff
	v_add_co_ci_u32_e64 v5, s3, s15, v3, s3
	global_load_b32 v0, v[0:1], off
	global_load_b32 v1, v[2:3], off
	global_load_b32 v2, v[4:5], off
	s_wait_loadcnt 0x7
	v_lshrrev_b32_e32 v3, 16, v7
	s_wait_loadcnt 0x6
	v_lshrrev_b32_e32 v4, 16, v6
	s_delay_alu instid0(VALU_DEP_2)
	v_mul_f16_e32 v5, v3, v6
	s_wait_loadcnt 0x5
	v_lshrrev_b32_e32 v11, 16, v8
	s_wait_loadcnt 0x4
	v_lshrrev_b32_e32 v12, 16, v9
	v_mul_f16_e32 v3, v3, v4
	s_wait_loadcnt 0x3
	v_lshrrev_b32_e32 v13, 16, v10
	v_fma_f16 v4, v7, v4, -v5
	s_delay_alu instid0(VALU_DEP_3)
	v_fmac_f16_e32 v3, v7, v6
	s_wait_loadcnt 0x2
	v_lshrrev_b32_e32 v5, 16, v0
	v_mul_f16_e32 v14, v11, v0
	s_wait_loadcnt 0x1
	v_lshrrev_b32_e32 v6, 16, v1
	s_wait_loadcnt 0x0
	v_lshrrev_b32_e32 v7, 16, v2
	v_mul_f16_e32 v11, v11, v5
	v_fma_f16 v5, v8, v5, -v14
	v_mul_f16_e32 v14, v12, v1
	v_mul_f16_e32 v12, v12, v6
	v_mul_f16_e32 v15, v13, v7
	v_mul_f16_e32 v13, v13, v2
	v_fmac_f16_e32 v11, v8, v0
	v_fma_f16 v0, v9, v6, -v14
	v_fmac_f16_e32 v12, v9, v1
	v_fmac_f16_e32 v15, v10, v2
	v_fma_f16 v1, v10, v7, -v13
	v_pack_b32_f16 v2, v3, v4
	v_pack_b32_f16 v3, v11, v5
	;; [unrolled: 1-line block ×3, first 2 shown]
	s_delay_alu instid0(VALU_DEP_4)
	v_pack_b32_f16 v1, v15, v1
	ds_store_b32 v35, v2 offset:1920
	ds_store_b32 v35, v3 offset:4320
	;; [unrolled: 1-line block ×4, first 2 shown]
.LBB0_3:
	s_or_b32 exec_lo, exec_lo, s6
	v_add_nc_u32_e32 v2, 0x940, v35
	v_add_nc_u32_e32 v4, 0x12c0, v35
	;; [unrolled: 1-line block ×3, first 2 shown]
	global_wb scope:SCOPE_SE
	s_wait_dscnt 0x0
	s_wait_kmcnt 0x0
	s_barrier_signal -1
	s_barrier_wait -1
	global_inv scope:SCOPE_SE
	ds_load_2addr_b32 v[0:1], v35 offset1:240
	ds_load_2addr_b32 v[2:3], v2 offset0:8 offset1:248
	ds_load_2addr_b32 v[4:5], v4 offset1:240
	ds_load_2addr_b32 v[6:7], v6 offset0:8 offset1:248
                                        ; implicit-def: $vgpr8
                                        ; implicit-def: $vgpr10
                                        ; implicit-def: $vgpr9
                                        ; implicit-def: $vgpr11
	s_and_saveexec_b32 s3, vcc_lo
	s_cbranch_execz .LBB0_5
; %bb.4:
	ds_load_b32 v8, v35 offset:1920
	ds_load_b32 v9, v35 offset:4320
	;; [unrolled: 1-line block ×4, first 2 shown]
.LBB0_5:
	s_wait_alu 0xfffe
	s_or_b32 exec_lo, exec_lo, s3
	s_wait_dscnt 0x1
	v_pk_add_f16 v14, v0, v4 neg_lo:[0,1] neg_hi:[0,1]
	v_pk_add_f16 v15, v1, v5 neg_lo:[0,1] neg_hi:[0,1]
	s_wait_dscnt 0x0
	v_pk_add_f16 v16, v3, v7 neg_lo:[0,1] neg_hi:[0,1]
	v_pk_add_f16 v13, v2, v6 neg_lo:[0,1] neg_hi:[0,1]
	v_add_co_u32 v12, null, 0xf0, v45
	v_lshrrev_b32_e32 v5, 16, v14
	s_delay_alu instid0(VALU_DEP_4)
	v_lshrrev_b32_e32 v6, 16, v16
	v_lshrrev_b32_e32 v7, 16, v15
	v_lshrrev_b32_e32 v4, 16, v13
	v_pk_fma_f16 v2, v2, 2.0, v13 op_sel_hi:[1,0,1] neg_lo:[0,0,1] neg_hi:[0,0,1]
	v_add_f16_e32 v18, v5, v13
	v_sub_f16_e32 v19, v15, v6
	v_add_f16_e32 v21, v7, v16
	v_pk_add_f16 v6, v8, v10 neg_lo:[0,1] neg_hi:[0,1]
	v_pk_add_f16 v10, v9, v11 neg_lo:[0,1] neg_hi:[0,1]
	v_sub_f16_e32 v17, v14, v4
	v_fma_f16 v22, v5, 2.0, -v18
	v_fma_f16 v24, v7, 2.0, -v21
	v_pk_fma_f16 v5, v8, 2.0, v6 op_sel_hi:[1,0,1] neg_lo:[0,0,1] neg_hi:[0,0,1]
	v_pk_fma_f16 v7, v9, 2.0, v10 op_sel_hi:[1,0,1] neg_lo:[0,0,1] neg_hi:[0,0,1]
	v_lshlrev_b16 v8, 2, v45
	v_pk_fma_f16 v9, v0, 2.0, v14 op_sel_hi:[1,0,1] neg_lo:[0,0,1] neg_hi:[0,0,1]
	v_pk_fma_f16 v1, v1, 2.0, v15 op_sel_hi:[1,0,1] neg_lo:[0,0,1] neg_hi:[0,0,1]
	;; [unrolled: 1-line block ×3, first 2 shown]
	v_fma_f16 v20, v14, 2.0, -v17
	v_pk_add_f16 v29, v6, v10 op_sel:[0,1] op_sel_hi:[1,0] neg_lo:[0,1] neg_hi:[0,1]
	v_pk_add_f16 v0, v6, v10 op_sel:[0,1] op_sel_hi:[1,0]
	v_and_b32_e32 v8, 0xffff, v8
	v_pk_add_f16 v10, v9, v2 neg_lo:[0,1] neg_hi:[0,1]
	v_fma_f16 v23, v15, 2.0, -v19
	v_pk_add_f16 v15, v1, v3 neg_lo:[0,1] neg_hi:[0,1]
	v_add_co_u32 v4, null, 0x1e0, v45
	v_lshlrev_b32_e32 v55, 2, v8
	v_pk_fma_f16 v8, v9, 2.0, v10 op_sel_hi:[1,0,1] neg_lo:[0,0,1] neg_hi:[0,0,1]
	v_pack_b32_f16 v11, v17, v18
	v_pack_b32_f16 v9, v20, v22
	v_lshlrev_b32_e32 v56, 4, v12
	v_lshrrev_b32_e32 v30, 16, v0
	v_pk_fma_f16 v13, v1, 2.0, v15 op_sel_hi:[1,0,1] neg_lo:[0,0,1] neg_hi:[0,0,1]
	v_pack_b32_f16 v16, v19, v21
	v_pack_b32_f16 v14, v23, v24
	global_wb scope:SCOPE_SE
	s_barrier_signal -1
	s_barrier_wait -1
	global_inv scope:SCOPE_SE
	ds_store_b128 v55, v[8:11]
	ds_store_b128 v56, v[13:16]
	s_and_saveexec_b32 s3, s2
	s_wait_alu 0xfffe
	s_xor_b32 s2, exec_lo, s3
; %bb.6:
                                        ; implicit-def: $vgpr0
                                        ; implicit-def: $vgpr6
; %bb.7:
	s_wait_alu 0xfffe
	s_or_saveexec_b32 s6, s2
	s_load_b64 s[2:3], s[0:1], 0x8
	v_pk_add_f16 v24, v5, v7 neg_lo:[0,1] neg_hi:[0,1]
	v_lshlrev_b32_e32 v57, 4, v4
	s_xor_b32 exec_lo, exec_lo, s6
	s_cbranch_execz .LBB0_9
; %bb.8:
	v_bfi_b32 v25, 0xffff, v29, v0
	v_pk_fma_f16 v22, v5, 2.0, v24 op_sel_hi:[1,0,1] neg_lo:[0,0,1] neg_hi:[0,0,1]
	s_delay_alu instid0(VALU_DEP_2)
	v_pk_fma_f16 v23, v6, 2.0, v25 op_sel_hi:[1,0,1] neg_lo:[0,0,1] neg_hi:[0,0,1]
	ds_store_b128 v57, v[22:25]
.LBB0_9:
	s_or_b32 exec_lo, exec_lo, s6
	v_and_b32_e32 v22, 3, v45
	global_wb scope:SCOPE_SE
	s_wait_dscnt 0x0
	s_wait_kmcnt 0x0
	s_barrier_signal -1
	s_barrier_wait -1
	global_inv scope:SCOPE_SE
	v_mad_co_u64_u32 v[8:9], null, v22, 36, s[2:3]
	v_add_nc_u32_e32 v15, 0x780, v35
	v_add_nc_u32_e32 v13, 0xf00, v35
	v_lshrrev_b32_e32 v20, 2, v45
	v_and_b32_e32 v21, 0xff, v45
	v_add_nc_u32_e32 v25, 0x1e00, v35
	v_add_nc_u32_e32 v14, 0x1680, v35
	s_clause 0x2
	global_load_b128 v[4:7], v[8:9], off
	global_load_b128 v[0:3], v[8:9], off offset:16
	global_load_b32 v54, v[8:9], off offset:32
	ds_load_2addr_b32 v[8:9], v35 offset1:240
	ds_load_2addr_b32 v[10:11], v15 offset1:240
	;; [unrolled: 1-line block ×4, first 2 shown]
	v_mul_lo_u16 v23, 0xcd, v21
	v_mul_u32_u24_e32 v31, 40, v20
	ds_load_2addr_b32 v[20:21], v25 offset1:240
	global_wb scope:SCOPE_SE
	s_wait_loadcnt_dscnt 0x0
	s_barrier_signal -1
	v_lshrrev_b16 v32, 13, v23
	v_or_b32_e32 v22, v31, v22
	s_barrier_wait -1
	global_inv scope:SCOPE_SE
	v_cmp_gt_u16_e64 s0, 0xa0, v45
	v_mul_lo_u16 v23, v32, 40
	v_lshlrev_b32_e32 v53, 2, v22
	s_delay_alu instid0(VALU_DEP_2)
	v_sub_nc_u16 v22, v45, v23
	v_lshrrev_b32_e32 v33, 16, v9
	v_lshrrev_b32_e32 v34, 16, v10
	v_lshrrev_b32_e32 v58, 16, v11
	v_lshrrev_b32_e32 v59, 16, v16
	v_lshrrev_b32_e32 v60, 16, v17
	v_lshrrev_b32_e32 v61, 16, v18
	v_lshrrev_b32_e32 v63, 16, v19
	v_lshrrev_b32_e32 v64, 16, v20
	v_lshrrev_b32_e32 v65, 16, v21
	v_lshrrev_b32_e32 v31, 16, v8
	v_and_b32_e32 v62, 0xff, v22
	s_delay_alu instid0(VALU_DEP_1)
	v_mad_co_u64_u32 v[22:23], null, v62, 36, s[2:3]
	v_lshrrev_b32_e32 v78, 16, v4
	v_lshrrev_b32_e32 v74, 16, v5
	;; [unrolled: 1-line block ×9, first 2 shown]
	v_mul_f16_e32 v67, v33, v78
	v_mul_f16_e32 v73, v9, v78
	;; [unrolled: 1-line block ×18, first 2 shown]
	v_fma_f16 v9, v9, v4, -v67
	v_fmac_f16_e32 v73, v33, v4
	v_fma_f16 v10, v10, v5, -v76
	v_fmac_f16_e32 v77, v34, v5
	;; [unrolled: 2-line block ×9, first 2 shown]
	v_add_f16_e32 v33, v8, v10
	v_add_f16_e32 v34, v16, v18
	v_sub_f16_e32 v60, v10, v16
	v_sub_f16_e32 v61, v20, v18
	;; [unrolled: 1-line block ×4, first 2 shown]
	v_add_f16_e32 v67, v31, v77
	v_sub_f16_e32 v81, v77, v82
	v_sub_f16_e32 v83, v90, v86
	v_add_f16_e32 v89, v9, v11
	v_add_f16_e32 v91, v17, v19
	;; [unrolled: 1-line block ×6, first 2 shown]
	v_sub_f16_e32 v58, v77, v90
	v_sub_f16_e32 v59, v82, v86
	v_add_f16_e32 v63, v10, v20
	v_add_f16_e32 v76, v82, v86
	v_sub_f16_e32 v79, v16, v18
	v_add_f16_e32 v85, v77, v90
	v_sub_f16_e32 v77, v82, v77
	v_sub_f16_e32 v93, v80, v92
	;; [unrolled: 1-line block ×6, first 2 shown]
	v_add_f16_e32 v16, v33, v16
	v_fma_f16 v33, -0.5, v34, v8
	v_add_f16_e32 v34, v60, v61
	v_add_f16_e32 v60, v64, v65
	v_add_f16_e32 v61, v67, v82
	v_add_f16_e32 v64, v81, v83
	v_add_f16_e32 v17, v89, v17
	v_fma_f16 v67, -0.5, v91, v9
	v_add_f16_e32 v81, v100, v84
	v_fma_f16 v82, -0.5, v101, v73
	v_sub_f16_e32 v87, v86, v90
	v_sub_f16_e32 v94, v84, v88
	v_fmac_f16_e32 v9, -0.5, v97
	v_fmac_f16_e32 v73, -0.5, v105
	v_sub_f16_e32 v96, v21, v19
	v_sub_f16_e32 v99, v19, v21
	;; [unrolled: 1-line block ×5, first 2 shown]
	v_fmac_f16_e32 v8, -0.5, v63
	v_fma_f16 v63, -0.5, v76, v31
	v_fmac_f16_e32 v31, -0.5, v85
	v_add_f16_e32 v17, v17, v19
	v_fmamk_f16 v19, v93, 0x3b9c, v67
	v_add_f16_e32 v81, v81, v88
	v_fmamk_f16 v88, v11, 0xbb9c, v82
	v_sub_f16_e32 v80, v84, v80
	v_add_f16_e32 v65, v77, v87
	v_fmamk_f16 v87, v94, 0xbb9c, v9
	v_fmac_f16_e32 v9, 0x3b9c, v94
	v_fmamk_f16 v89, v102, 0x3b9c, v73
	v_fmac_f16_e32 v73, 0xbb9c, v102
	v_sub_f16_e32 v10, v10, v20
	v_fmac_f16_e32 v67, 0xbb9c, v93
	v_fmac_f16_e32 v82, 0x3b9c, v11
	v_add_f16_e32 v76, v95, v96
	v_add_f16_e32 v83, v103, v104
	;; [unrolled: 1-line block ×4, first 2 shown]
	v_fmamk_f16 v86, v79, 0x3b9c, v31
	v_fmac_f16_e32 v31, 0xbb9c, v79
	v_fmac_f16_e32 v19, 0x38b4, v94
	;; [unrolled: 1-line block ×3, first 2 shown]
	v_add_f16_e32 v77, v98, v99
	v_add_f16_e32 v80, v80, v106
	v_fmamk_f16 v18, v58, 0x3b9c, v33
	v_fmac_f16_e32 v33, 0xbb9c, v58
	v_fmamk_f16 v84, v59, 0xbb9c, v8
	v_fmac_f16_e32 v8, 0x3b9c, v59
	v_fmac_f16_e32 v87, 0x38b4, v93
	;; [unrolled: 1-line block ×5, first 2 shown]
	v_fmamk_f16 v85, v10, 0xbb9c, v63
	v_fmac_f16_e32 v63, 0x3b9c, v10
	v_fmac_f16_e32 v67, 0xb8b4, v94
	;; [unrolled: 1-line block ×3, first 2 shown]
	v_add_f16_e32 v16, v16, v20
	v_add_f16_e32 v20, v61, v90
	v_fmac_f16_e32 v86, 0xb8b4, v10
	v_fmac_f16_e32 v31, 0x38b4, v10
	v_add_f16_e32 v10, v17, v21
	v_add_f16_e32 v17, v81, v92
	v_fmac_f16_e32 v19, 0x34f2, v76
	v_fmac_f16_e32 v88, 0x34f2, v83
	;; [unrolled: 1-line block ×14, first 2 shown]
	v_add_f16_e32 v11, v16, v10
	v_add_f16_e32 v21, v20, v17
	v_sub_f16_e32 v10, v16, v10
	v_sub_f16_e32 v16, v20, v17
	v_mul_f16_e32 v17, 0x38b4, v88
	v_mul_f16_e32 v59, 0xb8b4, v19
	v_fmac_f16_e32 v18, 0x34f2, v34
	v_fmac_f16_e32 v33, 0x34f2, v34
	;; [unrolled: 1-line block ×4, first 2 shown]
	v_mul_f16_e32 v20, 0x3b9c, v89
	v_mul_f16_e32 v34, 0x34f2, v9
	;; [unrolled: 1-line block ×4, first 2 shown]
	v_fmac_f16_e32 v85, 0x34f2, v64
	v_fmac_f16_e32 v63, 0x34f2, v64
	v_mul_f16_e32 v58, 0x3a79, v67
	v_mul_f16_e32 v64, 0x3a79, v82
	v_fmac_f16_e32 v17, 0x3a79, v19
	v_fmac_f16_e32 v59, 0x3a79, v88
	;; [unrolled: 1-line block ×4, first 2 shown]
	v_pack_b32_f16 v10, v10, v16
	v_fmac_f16_e32 v20, 0x34f2, v87
	v_fma_f16 v16, v73, 0x3b9c, -v34
	v_fmac_f16_e32 v60, 0x34f2, v89
	v_fma_f16 v9, v9, 0xbb9c, -v61
	v_pack_b32_f16 v11, v11, v21
	v_fma_f16 v19, v82, 0x38b4, -v58
	v_fma_f16 v21, v67, 0xb8b4, -v64
	v_add_f16_e32 v34, v18, v17
	v_add_f16_e32 v65, v85, v59
	;; [unrolled: 1-line block ×8, first 2 shown]
	v_sub_f16_e32 v17, v18, v17
	v_sub_f16_e32 v18, v84, v20
	;; [unrolled: 1-line block ×8, first 2 shown]
	v_pack_b32_f16 v31, v34, v65
	v_pack_b32_f16 v33, v58, v67
	;; [unrolled: 1-line block ×8, first 2 shown]
	ds_store_2addr_b32 v53, v11, v31 offset1:4
	ds_store_2addr_b32 v53, v33, v34 offset0:8 offset1:12
	ds_store_2addr_b32 v53, v58, v10 offset0:16 offset1:20
	;; [unrolled: 1-line block ×4, first 2 shown]
	global_wb scope:SCOPE_SE
	s_wait_dscnt 0x0
	s_barrier_signal -1
	s_barrier_wait -1
	global_inv scope:SCOPE_SE
	s_clause 0x2
	global_load_b128 v[16:19], v[22:23], off offset:144
	global_load_b128 v[8:11], v[22:23], off offset:160
	global_load_b32 v59, v[22:23], off offset:176
	v_and_b32_e32 v31, 0xffff, v32
	ds_load_2addr_b32 v[20:21], v35 offset1:240
	ds_load_2addr_b32 v[22:23], v15 offset1:240
	v_mul_u32_u24_e32 v15, 0x190, v31
	ds_load_2addr_b32 v[31:32], v13 offset1:240
	ds_load_2addr_b32 v[13:14], v14 offset1:240
	;; [unrolled: 1-line block ×3, first 2 shown]
	global_wb scope:SCOPE_SE
	s_wait_loadcnt_dscnt 0x0
	s_barrier_signal -1
	s_barrier_wait -1
	v_add_lshl_u32 v58, v15, v62, 2
	global_inv scope:SCOPE_SE
	v_add_nc_u32_e32 v15, 0x200, v58
	v_add_nc_u32_e32 v60, 0x400, v58
	v_lshrrev_b32_e32 v25, 16, v21
	v_lshrrev_b32_e32 v62, 16, v22
	;; [unrolled: 1-line block ×19, first 2 shown]
	v_mul_f16_e32 v79, v25, v89
	v_mul_f16_e32 v80, v21, v89
	;; [unrolled: 1-line block ×18, first 2 shown]
	v_fma_f16 v21, v21, v16, -v79
	v_fmac_f16_e32 v80, v25, v16
	v_fma_f16 v22, v22, v17, -v90
	v_fmac_f16_e32 v91, v62, v17
	;; [unrolled: 2-line block ×9, first 2 shown]
	v_add_f16_e32 v34, v20, v22
	v_sub_f16_e32 v65, v22, v25
	v_sub_f16_e32 v67, v32, v13
	;; [unrolled: 1-line block ×4, first 2 shown]
	v_add_f16_e32 v79, v61, v91
	v_sub_f16_e32 v94, v91, v95
	v_sub_f16_e32 v96, v103, v99
	v_add_f16_e32 v102, v21, v23
	v_add_f16_e32 v104, v31, v14
	;; [unrolled: 1-line block ×7, first 2 shown]
	v_sub_f16_e32 v63, v91, v103
	v_sub_f16_e32 v64, v95, v99
	v_add_f16_e32 v73, v22, v32
	v_add_f16_e32 v90, v95, v99
	v_sub_f16_e32 v92, v25, v13
	v_add_f16_e32 v98, v91, v103
	v_sub_f16_e32 v91, v95, v91
	v_sub_f16_e32 v106, v93, v105
	;; [unrolled: 1-line block ×6, first 2 shown]
	v_add_f16_e32 v25, v34, v25
	v_add_f16_e32 v34, v65, v67
	;; [unrolled: 1-line block ×6, first 2 shown]
	v_fma_f16 v79, -0.5, v104, v21
	v_add_f16_e32 v94, v113, v97
	v_fma_f16 v95, -0.5, v114, v80
	v_sub_f16_e32 v100, v99, v103
	v_sub_f16_e32 v107, v97, v101
	v_fmac_f16_e32 v21, -0.5, v110
	v_fmac_f16_e32 v80, -0.5, v118
	v_sub_f16_e32 v109, v33, v14
	v_sub_f16_e32 v112, v14, v33
	;; [unrolled: 1-line block ×5, first 2 shown]
	v_fma_f16 v62, -0.5, v62, v20
	v_fmac_f16_e32 v20, -0.5, v73
	v_fma_f16 v73, -0.5, v90, v61
	v_fmac_f16_e32 v61, -0.5, v98
	v_add_f16_e32 v14, v31, v14
	v_fmamk_f16 v31, v106, 0x3b9c, v79
	v_add_f16_e32 v94, v94, v101
	v_fmamk_f16 v101, v23, 0xbb9c, v95
	v_sub_f16_e32 v93, v97, v93
	v_add_f16_e32 v77, v91, v100
	v_fmamk_f16 v100, v107, 0xbb9c, v21
	v_fmac_f16_e32 v21, 0x3b9c, v107
	v_fmamk_f16 v102, v115, 0x3b9c, v80
	v_fmac_f16_e32 v80, 0xbb9c, v115
	v_sub_f16_e32 v22, v22, v32
	v_fmac_f16_e32 v79, 0xbb9c, v106
	v_fmac_f16_e32 v95, 0x3b9c, v23
	v_add_f16_e32 v90, v108, v109
	v_add_f16_e32 v96, v116, v117
	;; [unrolled: 1-line block ×4, first 2 shown]
	v_fmamk_f16 v99, v92, 0x3b9c, v61
	v_fmac_f16_e32 v61, 0xbb9c, v92
	v_fmac_f16_e32 v31, 0x38b4, v107
	;; [unrolled: 1-line block ×3, first 2 shown]
	v_add_f16_e32 v91, v111, v112
	v_add_f16_e32 v93, v93, v119
	v_fmamk_f16 v25, v63, 0x3b9c, v62
	v_fmac_f16_e32 v62, 0xbb9c, v63
	v_fmamk_f16 v97, v64, 0xbb9c, v20
	v_fmac_f16_e32 v20, 0x3b9c, v64
	v_fmac_f16_e32 v100, 0x38b4, v106
	;; [unrolled: 1-line block ×5, first 2 shown]
	v_fmamk_f16 v98, v22, 0xbb9c, v73
	v_fmac_f16_e32 v73, 0x3b9c, v22
	v_fmac_f16_e32 v79, 0xb8b4, v107
	;; [unrolled: 1-line block ×3, first 2 shown]
	v_add_f16_e32 v13, v13, v32
	v_add_f16_e32 v32, v67, v103
	v_fmac_f16_e32 v99, 0xb8b4, v22
	v_fmac_f16_e32 v61, 0x38b4, v22
	v_add_f16_e32 v14, v14, v33
	v_add_f16_e32 v22, v94, v105
	v_fmac_f16_e32 v31, 0x34f2, v90
	v_fmac_f16_e32 v101, 0x34f2, v96
	;; [unrolled: 1-line block ×14, first 2 shown]
	v_add_f16_e32 v23, v13, v14
	v_add_f16_e32 v33, v32, v22
	v_sub_f16_e32 v13, v13, v14
	v_sub_f16_e32 v14, v32, v22
	v_mul_f16_e32 v22, 0x38b4, v101
	v_mul_f16_e32 v64, 0xb8b4, v31
	v_fmac_f16_e32 v25, 0x34f2, v34
	v_fmac_f16_e32 v62, 0x34f2, v34
	;; [unrolled: 1-line block ×4, first 2 shown]
	v_mul_f16_e32 v32, 0x3b9c, v102
	v_mul_f16_e32 v34, 0x34f2, v21
	;; [unrolled: 1-line block ×4, first 2 shown]
	v_fmac_f16_e32 v98, 0x34f2, v76
	v_fmac_f16_e32 v73, 0x34f2, v76
	v_mul_f16_e32 v63, 0x3a79, v79
	v_mul_f16_e32 v76, 0x3a79, v95
	v_fmac_f16_e32 v22, 0x3a79, v31
	v_fmac_f16_e32 v64, 0x3a79, v101
	;; [unrolled: 1-line block ×4, first 2 shown]
	v_pack_b32_f16 v13, v13, v14
	v_fmac_f16_e32 v32, 0x34f2, v100
	v_fma_f16 v14, v80, 0x3b9c, -v34
	v_fmac_f16_e32 v65, 0x34f2, v102
	v_fma_f16 v21, v21, 0xbb9c, -v67
	v_fma_f16 v31, v95, 0x38b4, -v63
	;; [unrolled: 1-line block ×3, first 2 shown]
	v_add_f16_e32 v67, v25, v22
	v_add_f16_e32 v80, v98, v64
	;; [unrolled: 1-line block ×8, first 2 shown]
	v_pack_b32_f16 v23, v23, v33
	v_sub_f16_e32 v25, v25, v22
	v_sub_f16_e32 v33, v97, v32
	;; [unrolled: 1-line block ×8, first 2 shown]
	v_pack_b32_f16 v14, v67, v80
	v_pack_b32_f16 v20, v76, v94
	;; [unrolled: 1-line block ×8, first 2 shown]
	ds_store_2addr_b32 v58, v23, v14 offset1:40
	ds_store_2addr_b32 v58, v20, v21 offset0:80 offset1:120
	ds_store_2addr_b32 v58, v22, v13 offset0:160 offset1:200
	;; [unrolled: 1-line block ×4, first 2 shown]
	global_wb scope:SCOPE_SE
	s_wait_dscnt 0x0
	s_barrier_signal -1
	s_barrier_wait -1
	global_inv scope:SCOPE_SE
	ds_load_b32 v32, v35
	ds_load_b32 v65, v35 offset:1600
	ds_load_b32 v64, v35 offset:3200
	;; [unrolled: 1-line block ×5, first 2 shown]
	s_and_saveexec_b32 s1, s0
	s_cbranch_execz .LBB0_11
; %bb.10:
	ds_load_b32 v25, v35 offset:960
	ds_load_b32 v33, v35 offset:2560
	ds_load_b32 v34, v35 offset:4160
	ds_load_b32 v90, v35 offset:5760
	ds_load_b32 v29, v35 offset:8960
	ds_load_b32 v24, v35 offset:7360
	s_wait_dscnt 0x5
	v_lshrrev_b32_e32 v31, 16, v25
	s_wait_dscnt 0x4
	v_lshrrev_b32_e32 v93, 16, v33
	;; [unrolled: 2-line block ×5, first 2 shown]
.LBB0_11:
	s_wait_alu 0xfffe
	s_or_b32 exec_lo, exec_lo, s1
	v_add_nc_u32_e32 v15, 0xffffff60, v45
	v_mad_co_u64_u32 v[13:14], null, v45, 20, s[2:3]
	s_wait_dscnt 0x4
	v_lshrrev_b32_e32 v95, 16, v65
	s_wait_dscnt 0x3
	v_lshrrev_b32_e32 v96, 16, v64
	v_cndmask_b32_e64 v12, v15, v12, s0
	s_wait_dscnt 0x2
	v_lshrrev_b32_e32 v97, 16, v63
	s_wait_dscnt 0x1
	v_lshrrev_b32_e32 v98, 16, v62
	;; [unrolled: 2-line block ×3, first 2 shown]
	s_clause 0x1
	global_load_b128 v[20:23], v[13:14], off offset:1584
	global_load_b32 v67, v[13:14], off offset:1600
	v_mul_i32_i24_e32 v13, 20, v12
	v_mul_hi_i32_i24_e32 v12, 20, v12
	v_lshrrev_b32_e32 v94, 16, v32
	v_lshrrev_b32_e32 v100, 16, v24
	s_delay_alu instid0(VALU_DEP_4)
	v_add_co_u32 v76, s1, s2, v13
	s_wait_alu 0xf1ff
	v_add_co_ci_u32_e64 v77, s1, s3, v12, s1
	s_clause 0x1
	global_load_b128 v[12:15], v[76:77], off offset:1584
	global_load_b32 v60, v[76:77], off offset:1600
	s_wait_loadcnt 0x3
	v_lshrrev_b32_e32 v80, 16, v20
	v_lshrrev_b32_e32 v79, 16, v21
	;; [unrolled: 1-line block ×4, first 2 shown]
	s_wait_loadcnt 0x2
	v_lshrrev_b32_e32 v73, 16, v67
	v_mul_f16_e32 v101, v95, v80
	v_mul_f16_e32 v102, v65, v80
	;; [unrolled: 1-line block ×10, first 2 shown]
	v_fma_f16 v101, v65, v20, -v101
	v_fmac_f16_e32 v102, v95, v20
	v_fma_f16 v95, v64, v21, -v103
	v_fmac_f16_e32 v104, v96, v21
	;; [unrolled: 2-line block ×4, first 2 shown]
	v_fma_f16 v98, v61, v67, -v109
	s_wait_loadcnt 0x1
	v_lshrrev_b32_e32 v62, 16, v12
	v_lshrrev_b32_e32 v65, 16, v13
	;; [unrolled: 1-line block ×3, first 2 shown]
	s_wait_loadcnt 0x0
	v_lshrrev_b32_e32 v63, 16, v60
	v_fmac_f16_e32 v110, v99, v67
	v_lshrrev_b32_e32 v61, 16, v15
	v_sub_f16_e32 v105, v104, v108
	v_add_f16_e32 v107, v94, v104
	v_add_f16_e32 v104, v104, v108
	;; [unrolled: 1-line block ×3, first 2 shown]
	v_mul_f16_e32 v114, v93, v62
	v_mul_f16_e32 v116, v92, v65
	;; [unrolled: 1-line block ×6, first 2 shown]
	v_add_f16_e32 v99, v32, v95
	v_add_f16_e32 v103, v95, v97
	;; [unrolled: 1-line block ×3, first 2 shown]
	v_sub_f16_e32 v112, v106, v110
	v_add_f16_e32 v113, v102, v106
	v_add_f16_e32 v106, v106, v110
	v_mul_f16_e32 v115, v33, v62
	v_mul_f16_e32 v117, v34, v65
	;; [unrolled: 1-line block ×4, first 2 shown]
	v_fmac_f16_e32 v94, -0.5, v104
	v_fmac_f16_e32 v101, -0.5, v111
	v_fma_f16 v104, v33, v12, -v114
	v_fma_f16 v33, v34, v13, -v116
	;; [unrolled: 1-line block ×3, first 2 shown]
	v_fmac_f16_e32 v119, v91, v14
	v_fma_f16 v90, v29, v60, -v122
	v_fmac_f16_e32 v123, v30, v60
	v_sub_f16_e32 v95, v95, v97
	v_sub_f16_e32 v96, v96, v98
	v_add_f16_e32 v97, v99, v97
	v_fmac_f16_e32 v32, -0.5, v103
	v_add_f16_e32 v99, v107, v108
	v_add_f16_e32 v98, v109, v98
	;; [unrolled: 1-line block ×3, first 2 shown]
	v_fmac_f16_e32 v102, -0.5, v106
	v_fmac_f16_e32 v115, v93, v12
	v_fmac_f16_e32 v117, v92, v13
	v_fma_f16 v24, v24, v15, -v120
	v_fmac_f16_e32 v121, v100, v15
	v_fmamk_f16 v91, v112, 0x3aee, v101
	v_fmac_f16_e32 v101, 0xbaee, v112
	v_add_f16_e32 v107, v34, v90
	v_add_f16_e32 v110, v119, v123
	v_fmamk_f16 v92, v105, 0x3aee, v32
	v_fmac_f16_e32 v32, 0xbaee, v105
	v_fmamk_f16 v93, v95, 0xbaee, v94
	v_fmac_f16_e32 v94, 0x3aee, v95
	;; [unrolled: 2-line block ×3, first 2 shown]
	v_add_f16_e32 v29, v97, v98
	v_add_f16_e32 v30, v99, v103
	v_sub_f16_e32 v96, v97, v98
	v_sub_f16_e32 v97, v99, v103
	v_add_f16_e32 v98, v25, v33
	v_add_f16_e32 v99, v33, v24
	;; [unrolled: 1-line block ×3, first 2 shown]
	v_sub_f16_e32 v106, v33, v24
	v_add_f16_e32 v33, v104, v34
	v_sub_f16_e32 v108, v119, v123
	v_add_f16_e32 v109, v115, v119
	v_sub_f16_e32 v111, v34, v90
	v_mul_f16_e32 v113, -0.5, v101
	v_mul_f16_e32 v114, 0xbaee, v91
	v_fmac_f16_e32 v104, -0.5, v107
	v_fmac_f16_e32 v115, -0.5, v110
	v_sub_f16_e32 v100, v117, v121
	v_add_f16_e32 v103, v31, v117
	v_mul_f16_e32 v112, 0x3aee, v95
	v_mul_f16_e32 v116, -0.5, v102
	v_pack_b32_f16 v34, v29, v30
	v_pack_b32_f16 v117, v96, v97
	v_fmac_f16_e32 v25, -0.5, v99
	v_fmac_f16_e32 v31, -0.5, v105
	v_fmac_f16_e32 v113, 0x3aee, v102
	v_fmac_f16_e32 v114, 0.5, v95
	v_fmamk_f16 v95, v108, 0x3aee, v104
	v_fmac_f16_e32 v104, 0xbaee, v108
	v_fmamk_f16 v96, v111, 0xbaee, v115
	v_fmac_f16_e32 v115, 0x3aee, v111
	v_add_f16_e32 v24, v98, v24
	v_add_f16_e32 v29, v103, v121
	v_fmac_f16_e32 v112, 0.5, v91
	v_fmac_f16_e32 v116, 0xbaee, v101
	ds_store_b32 v35, v34
	v_fmamk_f16 v34, v100, 0x3aee, v25
	v_fmac_f16_e32 v25, 0xbaee, v100
	v_fmamk_f16 v98, v106, 0xbaee, v31
	v_fmac_f16_e32 v31, 0x3aee, v106
	v_add_f16_e32 v100, v32, v113
	v_sub_f16_e32 v103, v32, v113
	v_mul_f16_e32 v32, 0x3aee, v96
	v_mul_f16_e32 v105, -0.5, v104
	v_mul_f16_e32 v99, 0xbaee, v95
	v_mul_f16_e32 v106, -0.5, v115
	v_add_f16_e32 v30, v33, v90
	v_add_f16_e32 v33, v109, v123
	;; [unrolled: 1-line block ×5, first 2 shown]
	v_sub_f16_e32 v92, v92, v112
	v_sub_f16_e32 v93, v93, v114
	;; [unrolled: 1-line block ×3, first 2 shown]
	v_fmac_f16_e32 v105, 0x3aee, v115
	v_fmac_f16_e32 v106, 0xbaee, v104
	v_fmac_f16_e32 v32, 0.5, v95
	v_fmac_f16_e32 v99, 0.5, v96
	v_sub_f16_e32 v90, v24, v30
	v_sub_f16_e32 v91, v29, v33
	v_pack_b32_f16 v101, v97, v101
	v_pack_b32_f16 v100, v100, v102
	v_pack_b32_f16 v102, v92, v93
	v_pack_b32_f16 v103, v103, v94
	v_add_f16_e32 v92, v25, v105
	v_add_f16_e32 v93, v31, v106
	v_sub_f16_e32 v95, v34, v32
	v_sub_f16_e32 v94, v25, v105
	;; [unrolled: 1-line block ×4, first 2 shown]
	ds_store_b32 v35, v101 offset:1600
	ds_store_b32 v35, v100 offset:3200
	;; [unrolled: 1-line block ×5, first 2 shown]
	s_and_saveexec_b32 s1, s0
	s_cbranch_execz .LBB0_13
; %bb.12:
	v_add_f16_e32 v29, v29, v33
	v_add_f16_e32 v24, v24, v30
	;; [unrolled: 1-line block ×4, first 2 shown]
	v_perm_b32 v31, v93, v92, 0x5040100
	v_perm_b32 v32, v97, v94, 0x5040100
	v_pack_b32_f16 v24, v24, v29
	v_perm_b32 v29, v91, v90, 0x5040100
	v_pack_b32_f16 v25, v30, v25
	v_perm_b32 v30, v96, v95, 0x5040100
	ds_store_b32 v35, v24 offset:960
	ds_store_b32 v35, v25 offset:2560
	;; [unrolled: 1-line block ×6, first 2 shown]
.LBB0_13:
	s_wait_alu 0xfffe
	s_or_b32 exec_lo, exec_lo, s1
	s_add_nc_u64 s[2:3], s[16:17], 0x2580
	global_wb scope:SCOPE_SE
	s_wait_dscnt 0x0
	s_barrier_signal -1
	s_barrier_wait -1
	global_inv scope:SCOPE_SE
	s_clause 0x7
	global_load_b32 v29, v[26:27], off offset:9600
	global_load_b32 v30, v35, s[2:3] offset:8160
	global_load_b32 v32, v35, s[2:3] offset:5760
	;; [unrolled: 1-line block ×7, first 2 shown]
	ds_load_2addr_b32 v[24:25], v35 offset1:240
	s_wait_dscnt 0x0
	v_lshrrev_b32_e32 v33, 16, v24
	v_lshrrev_b32_e32 v99, 16, v25
	s_wait_loadcnt 0x7
	v_lshrrev_b32_e32 v98, 16, v29
	s_wait_loadcnt 0x6
	;; [unrolled: 2-line block ×5, first 2 shown]
	v_lshrrev_b32_e32 v100, 16, v31
	v_mul_f16_e32 v101, v33, v98
	v_mul_f16_e32 v98, v24, v98
	s_wait_loadcnt 0x2
	v_lshrrev_b32_e32 v106, 16, v102
	s_wait_loadcnt 0x1
	v_lshrrev_b32_e32 v107, 16, v103
	v_mul_f16_e32 v105, v99, v100
	v_fma_f16 v24, v24, v29, -v101
	v_fmac_f16_e32 v98, v33, v29
	v_mul_f16_e32 v100, v25, v100
	v_add_nc_u32_e32 v29, 0x940, v35
	v_fma_f16 v25, v25, v31, -v105
	v_add_nc_u32_e32 v33, 0x1c00, v35
	v_pack_b32_f16 v24, v24, v98
	v_fmac_f16_e32 v100, v99, v31
	v_add_nc_u32_e32 v31, 0x12c0, v35
	s_wait_loadcnt 0x0
	v_lshrrev_b32_e32 v108, 16, v104
	ds_store_b32 v35, v24
	v_pack_b32_f16 v105, v25, v100
	ds_load_2addr_b32 v[24:25], v29 offset0:8 offset1:248
	ds_load_2addr_b32 v[98:99], v31 offset1:240
	ds_load_2addr_b32 v[100:101], v33 offset0:8 offset1:248
	s_wait_dscnt 0x2
	v_lshrrev_b32_e32 v112, 16, v24
	v_lshrrev_b32_e32 v118, 16, v25
	s_wait_dscnt 0x1
	v_lshrrev_b32_e32 v114, 16, v98
	v_lshrrev_b32_e32 v120, 16, v99
	;; [unrolled: 3-line block ×3, first 2 shown]
	v_mul_f16_e32 v113, v24, v106
	v_mul_f16_e32 v119, v25, v109
	;; [unrolled: 1-line block ×12, first 2 shown]
	v_fmac_f16_e32 v113, v112, v102
	v_fmac_f16_e32 v119, v118, v34
	v_fma_f16 v24, v24, v102, -v106
	v_fma_f16 v25, v25, v34, -v109
	v_fmac_f16_e32 v115, v114, v103
	v_fmac_f16_e32 v121, v120, v32
	v_fma_f16 v98, v98, v103, -v107
	v_fma_f16 v32, v99, v32, -v110
	;; [unrolled: 4-line block ×3, first 2 shown]
	v_pack_b32_f16 v24, v24, v113
	v_pack_b32_f16 v25, v25, v119
	;; [unrolled: 1-line block ×6, first 2 shown]
	ds_store_b32 v35, v105 offset:960
	ds_store_2addr_b32 v29, v24, v25 offset0:8 offset1:248
	ds_store_2addr_b32 v31, v34, v32 offset1:240
	ds_store_2addr_b32 v33, v98, v30 offset0:8 offset1:248
	s_and_saveexec_b32 s1, vcc_lo
	s_cbranch_execz .LBB0_15
; %bb.14:
	s_wait_alu 0xfffe
	v_add_co_u32 v24, s2, s2, v35
	s_wait_alu 0xf1ff
	v_add_co_ci_u32_e64 v25, null, s3, 0, s2
	s_clause 0x3
	global_load_b32 v30, v[24:25], off offset:1920
	global_load_b32 v32, v[24:25], off offset:4320
	;; [unrolled: 1-line block ×4, first 2 shown]
	ds_load_b32 v25, v35 offset:1920
	ds_load_b32 v98, v35 offset:4320
	;; [unrolled: 1-line block ×4, first 2 shown]
	s_wait_dscnt 0x3
	v_lshrrev_b32_e32 v101, 16, v25
	s_wait_dscnt 0x2
	v_lshrrev_b32_e32 v102, 16, v98
	;; [unrolled: 2-line block ×4, first 2 shown]
	s_wait_loadcnt 0x3
	v_lshrrev_b32_e32 v104, 16, v30
	s_wait_loadcnt 0x2
	v_lshrrev_b32_e32 v106, 16, v32
	;; [unrolled: 2-line block ×4, first 2 shown]
	v_mul_f16_e32 v109, v101, v104
	v_mul_f16_e32 v104, v25, v104
	;; [unrolled: 1-line block ×8, first 2 shown]
	v_fma_f16 v25, v25, v30, -v109
	v_fmac_f16_e32 v104, v101, v30
	v_fma_f16 v30, v98, v32, -v110
	v_fmac_f16_e32 v106, v102, v32
	;; [unrolled: 2-line block ×4, first 2 shown]
	v_pack_b32_f16 v24, v25, v104
	v_pack_b32_f16 v25, v30, v106
	;; [unrolled: 1-line block ×3, first 2 shown]
	s_delay_alu instid0(VALU_DEP_4)
	v_pack_b32_f16 v32, v34, v108
	ds_store_b32 v35, v24 offset:1920
	ds_store_b32 v35, v25 offset:4320
	ds_store_b32 v35, v30 offset:6720
	ds_store_b32 v35, v32 offset:9120
.LBB0_15:
	s_wait_alu 0xfffe
	s_or_b32 exec_lo, exec_lo, s1
	global_wb scope:SCOPE_SE
	s_wait_dscnt 0x0
	s_barrier_signal -1
	s_barrier_wait -1
	global_inv scope:SCOPE_SE
	ds_load_2addr_b32 v[24:25], v35 offset1:240
	ds_load_2addr_b32 v[29:30], v29 offset0:8 offset1:248
	ds_load_2addr_b32 v[31:32], v31 offset1:240
	ds_load_2addr_b32 v[33:34], v33 offset0:8 offset1:248
	s_and_saveexec_b32 s1, vcc_lo
	s_cbranch_execz .LBB0_17
; %bb.16:
	ds_load_b32 v92, v35 offset:1920
	ds_load_b32 v90, v35 offset:4320
	;; [unrolled: 1-line block ×4, first 2 shown]
	s_wait_dscnt 0x3
	v_lshrrev_b32_e32 v93, 16, v92
	s_wait_dscnt 0x2
	v_lshrrev_b32_e32 v91, 16, v90
	;; [unrolled: 2-line block ×4, first 2 shown]
.LBB0_17:
	s_wait_alu 0xfffe
	s_or_b32 exec_lo, exec_lo, s1
	s_wait_dscnt 0x1
	v_pk_add_f16 v99, v24, v31 neg_lo:[0,1] neg_hi:[0,1]
	s_wait_dscnt 0x0
	v_pk_add_f16 v98, v29, v33 neg_lo:[0,1] neg_hi:[0,1]
	v_pk_add_f16 v101, v25, v32 neg_lo:[0,1] neg_hi:[0,1]
	;; [unrolled: 1-line block ×3, first 2 shown]
	v_sub_f16_e32 v94, v90, v94
	v_lshrrev_b32_e32 v32, 16, v99
	v_lshrrev_b32_e32 v31, 16, v98
	;; [unrolled: 1-line block ×4, first 2 shown]
	v_fma_f16 v90, v90, 2.0, -v94
	v_sub_f16_e32 v103, v32, v98
	v_add_f16_e32 v102, v99, v31
	v_sub_f16_e32 v31, v92, v95
	v_sub_f16_e32 v95, v34, v100
	v_add_f16_e32 v104, v101, v33
	v_fma_f16 v106, v32, 2.0, -v103
	v_sub_f16_e32 v32, v93, v96
	v_fma_f16 v33, v92, 2.0, -v31
	v_sub_f16_e32 v96, v91, v97
	v_fma_f16 v108, v34, 2.0, -v95
	v_pk_fma_f16 v92, v29, 2.0, v98 op_sel_hi:[1,0,1] neg_lo:[0,0,1] neg_hi:[0,0,1]
	v_fma_f16 v34, v93, 2.0, -v32
	v_pk_fma_f16 v93, v24, 2.0, v99 op_sel_hi:[1,0,1] neg_lo:[0,0,1] neg_hi:[0,0,1]
	v_sub_f16_e32 v24, v33, v90
	v_pk_fma_f16 v97, v25, 2.0, v101 op_sel_hi:[1,0,1] neg_lo:[0,0,1] neg_hi:[0,0,1]
	v_pk_fma_f16 v90, v30, 2.0, v100 op_sel_hi:[1,0,1] neg_lo:[0,0,1] neg_hi:[0,0,1]
	v_fma_f16 v105, v99, 2.0, -v102
	v_fma_f16 v91, v91, 2.0, -v96
	v_pk_add_f16 v92, v93, v92 neg_lo:[0,1] neg_hi:[0,1]
	v_fma_f16 v107, v101, 2.0, -v104
	v_add_f16_e32 v25, v96, v31
	v_pk_add_f16 v96, v97, v90 neg_lo:[0,1] neg_hi:[0,1]
	v_sub_f16_e32 v29, v34, v91
	v_sub_f16_e32 v30, v32, v94
	v_pk_fma_f16 v90, v93, 2.0, v92 op_sel_hi:[1,0,1] neg_lo:[0,0,1] neg_hi:[0,0,1]
	v_pack_b32_f16 v93, v102, v103
	v_pack_b32_f16 v91, v105, v106
	v_pk_fma_f16 v94, v97, 2.0, v96 op_sel_hi:[1,0,1] neg_lo:[0,0,1] neg_hi:[0,0,1]
	v_pack_b32_f16 v97, v104, v95
	v_pack_b32_f16 v95, v107, v108
	global_wb scope:SCOPE_SE
	s_barrier_signal -1
	s_barrier_wait -1
	global_inv scope:SCOPE_SE
	ds_store_b128 v55, v[90:93]
	ds_store_b128 v56, v[94:97]
	s_and_saveexec_b32 s1, vcc_lo
	s_cbranch_execz .LBB0_19
; %bb.18:
	v_fma_f16 v31, v31, 2.0, -v25
	v_fma_f16 v32, v32, 2.0, -v30
	;; [unrolled: 1-line block ×4, first 2 shown]
	s_delay_alu instid0(VALU_DEP_3) | instskip(NEXT) | instid1(VALU_DEP_2)
	v_pack_b32_f16 v32, v31, v32
	v_pack_b32_f16 v31, v33, v34
	v_perm_b32 v34, v30, v25, 0x5040100
	v_perm_b32 v33, v29, v24, 0x5040100
	ds_store_b128 v57, v[31:34]
.LBB0_19:
	s_wait_alu 0xfffe
	s_or_b32 exec_lo, exec_lo, s1
	v_add_nc_u32_e32 v57, 0x780, v35
	global_wb scope:SCOPE_SE
	s_wait_dscnt 0x0
	s_barrier_signal -1
	s_barrier_wait -1
	global_inv scope:SCOPE_SE
	ds_load_2addr_b32 v[31:32], v35 offset1:240
	ds_load_2addr_b32 v[33:34], v57 offset1:240
	v_add_nc_u32_e32 v94, 0xf00, v35
	v_add_nc_u32_e32 v95, 0x1680, v35
	;; [unrolled: 1-line block ×3, first 2 shown]
	ds_load_2addr_b32 v[55:56], v94 offset1:240
	ds_load_2addr_b32 v[90:91], v95 offset1:240
	ds_load_2addr_b32 v[92:93], v96 offset1:240
	global_wb scope:SCOPE_SE
	s_wait_dscnt 0x0
	s_barrier_signal -1
	s_barrier_wait -1
	global_inv scope:SCOPE_SE
	v_lshrrev_b32_e32 v98, 16, v32
	v_mul_f16_e32 v99, v78, v32
	v_lshrrev_b32_e32 v100, 16, v33
	v_lshrrev_b32_e32 v101, 16, v34
	v_mul_f16_e32 v108, v75, v34
	v_lshrrev_b32_e32 v102, 16, v55
	v_lshrrev_b32_e32 v103, 16, v56
	;; [unrolled: 1-line block ×3, first 2 shown]
	v_mul_f16_e32 v78, v78, v98
	v_fma_f16 v98, v4, v98, -v99
	v_mul_f16_e32 v99, v74, v33
	v_mul_f16_e32 v74, v74, v100
	;; [unrolled: 1-line block ×3, first 2 shown]
	v_lshrrev_b32_e32 v106, 16, v92
	v_fmac_f16_e32 v78, v4, v32
	v_fma_f16 v4, v5, v100, -v99
	v_mul_f16_e32 v32, v72, v102
	v_fmac_f16_e32 v74, v5, v33
	v_fmac_f16_e32 v75, v6, v34
	v_fma_f16 v5, v6, v101, -v108
	v_mul_f16_e32 v6, v71, v103
	v_mul_f16_e32 v33, v71, v56
	;; [unrolled: 1-line block ×3, first 2 shown]
	v_lshrrev_b32_e32 v105, 16, v91
	v_mul_f16_e32 v109, v72, v55
	v_fmac_f16_e32 v32, v7, v55
	v_fmac_f16_e32 v6, v0, v56
	v_mul_f16_e32 v55, v70, v90
	v_fma_f16 v0, v0, v103, -v33
	v_fmac_f16_e32 v34, v1, v90
	v_mul_f16_e32 v33, v68, v92
	v_mul_f16_e32 v68, v68, v106
	v_lshrrev_b32_e32 v107, 16, v93
	v_mul_f16_e32 v56, v69, v105
	v_fma_f16 v1, v1, v104, -v55
	v_mul_f16_e32 v55, v69, v91
	v_add_f16_e32 v69, v32, v34
	v_fma_f16 v33, v3, v106, -v33
	v_add_f16_e32 v71, v31, v74
	v_fmac_f16_e32 v68, v3, v92
	v_lshrrev_b32_e32 v97, 16, v31
	v_fma_f16 v7, v7, v102, -v109
	v_mul_f16_e32 v70, v66, v107
	v_fma_f16 v69, -0.5, v69, v31
	v_sub_f16_e32 v72, v4, v33
	v_add_f16_e32 v3, v71, v32
	v_add_f16_e32 v92, v74, v68
	v_fmac_f16_e32 v56, v2, v91
	v_fma_f16 v2, v2, v105, -v55
	v_fmac_f16_e32 v70, v54, v93
	v_fmamk_f16 v55, v72, 0xbb9c, v69
	v_sub_f16_e32 v71, v7, v1
	v_sub_f16_e32 v90, v74, v32
	;; [unrolled: 1-line block ×3, first 2 shown]
	v_mul_f16_e32 v66, v66, v93
	v_add_f16_e32 v3, v3, v34
	v_fmac_f16_e32 v31, -0.5, v92
	v_fmac_f16_e32 v69, 0x3b9c, v72
	v_add_f16_e32 v93, v97, v4
	v_fmac_f16_e32 v55, 0xb8b4, v71
	v_add_f16_e32 v90, v90, v91
	v_fma_f16 v54, v54, v107, -v66
	v_add_f16_e32 v3, v3, v68
	v_fmamk_f16 v66, v71, 0x3b9c, v31
	v_sub_f16_e32 v91, v32, v74
	v_sub_f16_e32 v92, v34, v68
	v_fmac_f16_e32 v69, 0x38b4, v71
	v_add_f16_e32 v99, v7, v1
	v_fmac_f16_e32 v31, 0xbb9c, v71
	v_add_f16_e32 v71, v93, v7
	v_sub_f16_e32 v68, v74, v68
	v_add_f16_e32 v74, v4, v33
	v_fmac_f16_e32 v55, 0x34f2, v90
	v_add_f16_e32 v91, v91, v92
	v_fma_f16 v92, -0.5, v99, v97
	v_fmac_f16_e32 v69, 0x34f2, v90
	v_add_f16_e32 v71, v71, v1
	v_sub_f16_e32 v32, v32, v34
	v_sub_f16_e32 v34, v4, v7
	;; [unrolled: 1-line block ×3, first 2 shown]
	v_fmac_f16_e32 v97, -0.5, v74
	v_sub_f16_e32 v4, v7, v4
	v_sub_f16_e32 v1, v1, v33
	v_add_f16_e32 v7, v78, v75
	v_fmac_f16_e32 v66, 0xb8b4, v72
	v_fmac_f16_e32 v31, 0x38b4, v72
	v_fmamk_f16 v72, v68, 0x3b9c, v92
	v_fmac_f16_e32 v92, 0xbb9c, v68
	v_fmamk_f16 v74, v32, 0xbb9c, v97
	v_add_f16_e32 v1, v4, v1
	v_fmac_f16_e32 v97, 0x3b9c, v32
	v_add_f16_e32 v4, v7, v6
	v_add_f16_e32 v7, v6, v56
	v_fmac_f16_e32 v72, 0x38b4, v32
	v_fmac_f16_e32 v92, 0xb8b4, v32
	;; [unrolled: 1-line block ×4, first 2 shown]
	v_add_f16_e32 v4, v4, v56
	v_add_f16_e32 v32, v75, v70
	v_add_f16_e32 v71, v71, v33
	v_add_f16_e32 v34, v34, v90
	v_fma_f16 v7, -0.5, v7, v78
	v_sub_f16_e32 v33, v5, v54
	v_fmac_f16_e32 v74, 0x34f2, v1
	v_fmac_f16_e32 v97, 0x34f2, v1
	v_add_f16_e32 v1, v4, v70
	v_sub_f16_e32 v4, v0, v2
	v_fmac_f16_e32 v78, -0.5, v32
	v_fmac_f16_e32 v72, 0x34f2, v34
	v_fmac_f16_e32 v92, 0x34f2, v34
	v_fmamk_f16 v32, v33, 0xbb9c, v7
	v_sub_f16_e32 v34, v75, v6
	v_sub_f16_e32 v68, v70, v56
	v_fmac_f16_e32 v7, 0x3b9c, v33
	v_fmamk_f16 v90, v4, 0x3b9c, v78
	v_fmac_f16_e32 v78, 0xbb9c, v4
	v_fmac_f16_e32 v66, 0x34f2, v91
	;; [unrolled: 1-line block ×3, first 2 shown]
	v_sub_f16_e32 v91, v6, v75
	v_sub_f16_e32 v93, v56, v70
	v_fmac_f16_e32 v32, 0xb8b4, v4
	v_add_f16_e32 v34, v34, v68
	v_fmac_f16_e32 v7, 0x38b4, v4
	v_add_f16_e32 v4, v0, v2
	v_fmac_f16_e32 v90, 0xb8b4, v33
	v_fmac_f16_e32 v78, 0x38b4, v33
	v_add_f16_e32 v33, v5, v54
	v_add_f16_e32 v68, v91, v93
	v_fmac_f16_e32 v32, 0x34f2, v34
	v_fmac_f16_e32 v7, 0x34f2, v34
	v_fma_f16 v4, -0.5, v4, v98
	v_sub_f16_e32 v34, v75, v70
	v_add_f16_e32 v70, v98, v5
	v_sub_f16_e32 v6, v6, v56
	v_fmac_f16_e32 v98, -0.5, v33
	v_fmac_f16_e32 v90, 0x34f2, v68
	v_fmac_f16_e32 v78, 0x34f2, v68
	v_fmamk_f16 v33, v34, 0x3b9c, v4
	v_sub_f16_e32 v56, v5, v0
	v_sub_f16_e32 v68, v54, v2
	v_fmamk_f16 v75, v6, 0xbb9c, v98
	v_sub_f16_e32 v5, v0, v5
	v_sub_f16_e32 v91, v2, v54
	v_fmac_f16_e32 v98, 0x3b9c, v6
	v_fmac_f16_e32 v4, 0xbb9c, v34
	;; [unrolled: 1-line block ×3, first 2 shown]
	v_add_f16_e32 v56, v56, v68
	v_fmac_f16_e32 v75, 0x38b4, v34
	v_add_f16_e32 v5, v5, v91
	v_fmac_f16_e32 v98, 0xb8b4, v34
	v_fmac_f16_e32 v4, 0xb8b4, v6
	v_add_f16_e32 v0, v70, v0
	v_fmac_f16_e32 v33, 0x34f2, v56
	v_fmac_f16_e32 v75, 0x34f2, v5
	;; [unrolled: 1-line block ×4, first 2 shown]
	v_add_f16_e32 v0, v0, v2
	v_mul_f16_e32 v2, 0xb8b4, v33
	v_mul_f16_e32 v33, 0x3a79, v33
	;; [unrolled: 1-line block ×8, first 2 shown]
	v_add_f16_e32 v0, v0, v54
	v_fmac_f16_e32 v2, 0x3a79, v32
	v_fmac_f16_e32 v33, 0x38b4, v32
	;; [unrolled: 1-line block ×8, first 2 shown]
	v_add_f16_e32 v54, v3, v1
	v_add_f16_e32 v56, v55, v2
	;; [unrolled: 1-line block ×10, first 2 shown]
	v_sub_f16_e32 v1, v3, v1
	v_sub_f16_e32 v0, v71, v0
	;; [unrolled: 1-line block ×10, first 2 shown]
	v_pack_b32_f16 v7, v54, v7
	v_pack_b32_f16 v32, v56, v32
	;; [unrolled: 1-line block ×10, first 2 shown]
	ds_store_2addr_b32 v53, v7, v32 offset1:4
	ds_store_2addr_b32 v53, v54, v55 offset0:8 offset1:12
	ds_store_2addr_b32 v53, v56, v0 offset0:16 offset1:20
	ds_store_2addr_b32 v53, v1, v2 offset0:24 offset1:28
	ds_store_2addr_b32 v53, v3, v4 offset0:32 offset1:36
	global_wb scope:SCOPE_SE
	s_wait_dscnt 0x0
	s_barrier_signal -1
	s_barrier_wait -1
	global_inv scope:SCOPE_SE
	ds_load_2addr_b32 v[1:2], v35 offset1:240
	ds_load_2addr_b32 v[3:4], v57 offset1:240
	;; [unrolled: 1-line block ×5, first 2 shown]
	global_wb scope:SCOPE_SE
	s_wait_dscnt 0x0
	s_barrier_signal -1
	s_barrier_wait -1
	global_inv scope:SCOPE_SE
	v_lshrrev_b32_e32 v0, 16, v2
	v_lshrrev_b32_e32 v53, 16, v3
	;; [unrolled: 1-line block ×3, first 2 shown]
	v_mul_f16_e32 v70, v89, v2
	v_lshrrev_b32_e32 v55, 16, v5
	v_mul_f16_e32 v68, v89, v0
	v_mul_f16_e32 v71, v88, v53
	v_lshrrev_b32_e32 v56, 16, v6
	v_fma_f16 v0, v16, v0, -v70
	v_lshrrev_b32_e32 v57, 16, v31
	v_fmac_f16_e32 v68, v16, v2
	v_mul_f16_e32 v2, v88, v3
	v_fmac_f16_e32 v71, v17, v3
	v_mul_f16_e32 v3, v87, v54
	v_mul_f16_e32 v16, v87, v4
	v_lshrrev_b32_e32 v66, 16, v32
	v_fma_f16 v2, v17, v53, -v2
	v_mul_f16_e32 v17, v86, v55
	v_mul_f16_e32 v53, v86, v5
	v_fmac_f16_e32 v3, v18, v4
	v_fma_f16 v4, v18, v54, -v16
	v_mul_f16_e32 v16, v85, v56
	v_lshrrev_b32_e32 v69, 16, v33
	v_fmac_f16_e32 v17, v19, v5
	v_fma_f16 v5, v19, v55, -v53
	v_mul_f16_e32 v18, v85, v6
	v_mul_f16_e32 v19, v84, v57
	v_fmac_f16_e32 v16, v8, v6
	v_mul_f16_e32 v6, v84, v31
	v_mul_f16_e32 v53, v83, v66
	v_fma_f16 v8, v8, v56, -v18
	v_fmac_f16_e32 v19, v9, v31
	v_mul_f16_e32 v18, v82, v33
	v_fma_f16 v6, v9, v57, -v6
	v_fmac_f16_e32 v53, v10, v32
	v_mul_f16_e32 v9, v83, v32
	v_mul_f16_e32 v32, v82, v69
	v_lshrrev_b32_e32 v72, 16, v34
	v_add_f16_e32 v31, v17, v19
	v_fma_f16 v18, v11, v69, -v18
	v_add_f16_e32 v55, v1, v71
	v_fmac_f16_e32 v32, v11, v33
	v_fma_f16 v9, v10, v66, -v9
	v_lshrrev_b32_e32 v7, 16, v1
	v_mul_f16_e32 v54, v81, v72
	v_fma_f16 v31, -0.5, v31, v1
	v_add_f16_e32 v66, v71, v32
	v_sub_f16_e32 v56, v2, v18
	v_add_f16_e32 v10, v55, v17
	v_sub_f16_e32 v33, v5, v6
	v_sub_f16_e32 v55, v71, v17
	;; [unrolled: 1-line block ×3, first 2 shown]
	v_fmac_f16_e32 v1, -0.5, v66
	v_fmac_f16_e32 v54, v59, v34
	v_fmamk_f16 v11, v56, 0xbb9c, v31
	v_mul_f16_e32 v34, v81, v34
	v_add_f16_e32 v55, v55, v57
	v_fmac_f16_e32 v31, 0x3b9c, v56
	v_fmamk_f16 v57, v33, 0x3b9c, v1
	v_add_f16_e32 v69, v7, v2
	v_fmac_f16_e32 v1, 0xbb9c, v33
	v_add_f16_e32 v10, v10, v19
	v_fmac_f16_e32 v11, 0xb8b4, v33
	v_fma_f16 v34, v59, v72, -v34
	v_sub_f16_e32 v59, v17, v71
	v_sub_f16_e32 v66, v19, v32
	v_fmac_f16_e32 v31, 0x38b4, v33
	v_add_f16_e32 v70, v5, v6
	v_fmac_f16_e32 v57, 0xb8b4, v56
	v_add_f16_e32 v33, v69, v5
	v_fmac_f16_e32 v1, 0x38b4, v56
	v_add_f16_e32 v56, v2, v18
	v_add_f16_e32 v10, v10, v32
	v_add_f16_e32 v59, v59, v66
	v_fma_f16 v66, -0.5, v70, v7
	v_sub_f16_e32 v32, v71, v32
	v_add_f16_e32 v33, v33, v6
	v_sub_f16_e32 v17, v17, v19
	v_sub_f16_e32 v19, v2, v5
	v_sub_f16_e32 v69, v18, v6
	v_fmac_f16_e32 v7, -0.5, v56
	v_sub_f16_e32 v2, v5, v2
	v_sub_f16_e32 v5, v6, v18
	v_add_f16_e32 v6, v68, v3
	v_fmac_f16_e32 v11, 0x34f2, v55
	v_fmac_f16_e32 v31, 0x34f2, v55
	v_fmamk_f16 v55, v32, 0x3b9c, v66
	v_fmac_f16_e32 v66, 0xbb9c, v32
	v_fmamk_f16 v56, v17, 0xbb9c, v7
	v_add_f16_e32 v2, v2, v5
	v_fmac_f16_e32 v7, 0x3b9c, v17
	v_add_f16_e32 v5, v6, v16
	v_add_f16_e32 v6, v16, v53
	v_fmac_f16_e32 v55, 0x38b4, v17
	v_fmac_f16_e32 v66, 0xb8b4, v17
	;; [unrolled: 1-line block ×4, first 2 shown]
	v_add_f16_e32 v5, v5, v53
	v_add_f16_e32 v17, v3, v54
	;; [unrolled: 1-line block ×3, first 2 shown]
	v_fma_f16 v6, -0.5, v6, v68
	v_sub_f16_e32 v18, v4, v34
	v_add_f16_e32 v19, v19, v69
	v_fmac_f16_e32 v56, 0x34f2, v2
	v_fmac_f16_e32 v7, 0x34f2, v2
	v_add_f16_e32 v2, v5, v54
	v_sub_f16_e32 v5, v8, v9
	v_fmac_f16_e32 v68, -0.5, v17
	v_fmamk_f16 v17, v18, 0xbb9c, v6
	v_fmac_f16_e32 v6, 0x3b9c, v18
	v_fmac_f16_e32 v57, 0x34f2, v59
	;; [unrolled: 1-line block ×5, first 2 shown]
	v_sub_f16_e32 v19, v3, v16
	v_sub_f16_e32 v32, v54, v53
	v_fmamk_f16 v59, v5, 0x3b9c, v68
	v_fmac_f16_e32 v68, 0xbb9c, v5
	v_sub_f16_e32 v69, v16, v3
	v_sub_f16_e32 v70, v53, v54
	v_fmac_f16_e32 v17, 0xb8b4, v5
	v_fmac_f16_e32 v6, 0x38b4, v5
	v_add_f16_e32 v5, v8, v9
	v_add_f16_e32 v19, v19, v32
	v_fmac_f16_e32 v59, 0xb8b4, v18
	v_fmac_f16_e32 v68, 0x38b4, v18
	v_add_f16_e32 v18, v4, v34
	v_add_f16_e32 v32, v69, v70
	v_fma_f16 v5, -0.5, v5, v0
	v_sub_f16_e32 v3, v3, v54
	v_fmac_f16_e32 v17, 0x34f2, v19
	v_fmac_f16_e32 v6, 0x34f2, v19
	v_add_f16_e32 v19, v0, v4
	v_sub_f16_e32 v16, v16, v53
	v_fmac_f16_e32 v0, -0.5, v18
	v_fmac_f16_e32 v59, 0x34f2, v32
	v_fmac_f16_e32 v68, 0x34f2, v32
	v_fmamk_f16 v18, v3, 0x3b9c, v5
	v_sub_f16_e32 v32, v4, v8
	v_sub_f16_e32 v53, v34, v9
	v_fmamk_f16 v54, v16, 0xbb9c, v0
	v_sub_f16_e32 v4, v8, v4
	v_sub_f16_e32 v69, v9, v34
	v_fmac_f16_e32 v0, 0x3b9c, v16
	v_fmac_f16_e32 v5, 0xbb9c, v3
	;; [unrolled: 1-line block ×3, first 2 shown]
	v_add_f16_e32 v32, v32, v53
	v_fmac_f16_e32 v54, 0x38b4, v3
	v_add_f16_e32 v4, v4, v69
	v_fmac_f16_e32 v0, 0xb8b4, v3
	v_fmac_f16_e32 v5, 0xb8b4, v16
	v_add_f16_e32 v3, v19, v8
	v_fmac_f16_e32 v18, 0x34f2, v32
	v_fmac_f16_e32 v54, 0x34f2, v4
	;; [unrolled: 1-line block ×4, first 2 shown]
	v_add_f16_e32 v3, v3, v9
	v_mul_f16_e32 v4, 0xb8b4, v18
	v_mul_f16_e32 v18, 0x3a79, v18
	;; [unrolled: 1-line block ×8, first 2 shown]
	v_add_f16_e32 v16, v3, v34
	v_fmac_f16_e32 v4, 0x3a79, v17
	v_fmac_f16_e32 v18, 0x38b4, v17
	;; [unrolled: 1-line block ×8, first 2 shown]
	v_add_f16_e32 v32, v10, v2
	v_add_f16_e32 v34, v11, v4
	;; [unrolled: 1-line block ×10, first 2 shown]
	v_sub_f16_e32 v10, v10, v2
	v_sub_f16_e32 v2, v57, v8
	;; [unrolled: 1-line block ×10, first 2 shown]
	v_pack_b32_f16 v9, v32, v17
	v_pack_b32_f16 v11, v34, v59
	v_pack_b32_f16 v16, v53, v68
	v_pack_b32_f16 v17, v69, v74
	v_pack_b32_f16 v18, v72, v75
	v_pack_b32_f16 v8, v10, v8
	v_pack_b32_f16 v10, v0, v1
	v_pack_b32_f16 v19, v2, v5
	v_add_nc_u32_e32 v31, 0x200, v58
	v_pack_b32_f16 v32, v3, v7
	v_pack_b32_f16 v33, v4, v6
	v_add_nc_u32_e32 v34, 0x400, v58
	ds_store_2addr_b32 v58, v9, v11 offset1:40
	ds_store_2addr_b32 v58, v16, v17 offset0:80 offset1:120
	ds_store_2addr_b32 v58, v18, v8 offset0:160 offset1:200
	;; [unrolled: 1-line block ×4, first 2 shown]
	global_wb scope:SCOPE_SE
	s_wait_dscnt 0x0
	s_barrier_signal -1
	s_barrier_wait -1
	global_inv scope:SCOPE_SE
	ds_load_b32 v8, v35
	ds_load_b32 v17, v35 offset:1600
	ds_load_b32 v16, v35 offset:3200
	;; [unrolled: 1-line block ×5, first 2 shown]
	s_and_saveexec_b32 s1, s0
	s_cbranch_execz .LBB0_21
; %bb.20:
	ds_load_b32 v0, v35 offset:960
	ds_load_b32 v2, v35 offset:2560
	;; [unrolled: 1-line block ×6, first 2 shown]
	s_wait_dscnt 0x5
	v_lshrrev_b32_e32 v1, 16, v0
	s_wait_dscnt 0x4
	v_lshrrev_b32_e32 v5, 16, v2
	;; [unrolled: 2-line block ×6, first 2 shown]
.LBB0_21:
	s_wait_alu 0xfffe
	s_or_b32 exec_lo, exec_lo, s1
	s_wait_dscnt 0x4
	v_lshrrev_b32_e32 v18, 16, v17
	s_wait_dscnt 0x3
	v_lshrrev_b32_e32 v31, 16, v16
	;; [unrolled: 2-line block ×4, first 2 shown]
	v_mul_f16_e32 v53, v80, v17
	v_mul_f16_e32 v34, v80, v18
	;; [unrolled: 1-line block ×4, first 2 shown]
	s_wait_dscnt 0x0
	v_lshrrev_b32_e32 v54, 16, v9
	v_lshrrev_b32_e32 v19, 16, v8
	v_fmac_f16_e32 v34, v20, v17
	v_fma_f16 v17, v20, v18, -v53
	v_mul_f16_e32 v18, v77, v32
	v_fmac_f16_e32 v55, v21, v16
	v_mul_f16_e32 v16, v76, v33
	v_fma_f16 v20, v21, v31, -v56
	v_mul_f16_e32 v21, v77, v11
	v_fmac_f16_e32 v18, v22, v11
	v_mul_f16_e32 v11, v76, v10
	v_fmac_f16_e32 v16, v23, v10
	v_mul_f16_e32 v10, v73, v54
	v_fma_f16 v21, v22, v32, -v21
	v_mul_f16_e32 v22, v73, v9
	v_fma_f16 v11, v23, v33, -v11
	v_add_f16_e32 v23, v55, v16
	v_fmac_f16_e32 v10, v67, v9
	v_add_f16_e32 v9, v8, v55
	v_fma_f16 v22, v67, v54, -v22
	v_add_f16_e32 v31, v20, v11
	v_fmac_f16_e32 v8, -0.5, v23
	v_sub_f16_e32 v23, v20, v11
	v_add_f16_e32 v20, v19, v20
	v_add_f16_e32 v9, v9, v16
	v_fmac_f16_e32 v19, -0.5, v31
	v_sub_f16_e32 v16, v55, v16
	v_fmamk_f16 v31, v23, 0xbaee, v8
	v_fmac_f16_e32 v8, 0x3aee, v23
	v_add_f16_e32 v23, v21, v22
	v_add_f16_e32 v32, v18, v10
	;; [unrolled: 1-line block ×4, first 2 shown]
	v_fmamk_f16 v20, v16, 0x3aee, v19
	v_fmac_f16_e32 v17, -0.5, v23
	v_sub_f16_e32 v23, v18, v10
	v_add_f16_e32 v18, v34, v18
	v_fmac_f16_e32 v34, -0.5, v32
	v_sub_f16_e32 v21, v21, v22
	v_fmac_f16_e32 v19, 0xbaee, v16
	v_fmamk_f16 v16, v23, 0x3aee, v17
	v_fmac_f16_e32 v17, 0xbaee, v23
	v_add_f16_e32 v10, v18, v10
	v_fmamk_f16 v18, v21, 0xbaee, v34
	v_fmac_f16_e32 v34, 0x3aee, v21
	v_mul_f16_e32 v21, 0xbaee, v16
	v_mul_f16_e32 v16, 0.5, v16
	v_mul_f16_e32 v23, 0xbaee, v17
	v_mul_f16_e32 v17, -0.5, v17
	v_add_f16_e32 v22, v33, v22
	v_fmac_f16_e32 v21, 0.5, v18
	v_fmac_f16_e32 v16, 0x3aee, v18
	v_fmac_f16_e32 v23, -0.5, v34
	v_fmac_f16_e32 v17, 0x3aee, v34
	v_add_f16_e32 v32, v9, v10
	v_add_f16_e32 v34, v11, v22
	;; [unrolled: 1-line block ×6, first 2 shown]
	v_sub_f16_e32 v9, v9, v10
	v_sub_f16_e32 v11, v11, v22
	;; [unrolled: 1-line block ×6, first 2 shown]
	v_pack_b32_f16 v19, v32, v34
	v_pack_b32_f16 v18, v18, v53
	;; [unrolled: 1-line block ×6, first 2 shown]
	ds_store_b32 v35, v19
	ds_store_b32 v35, v18 offset:1600
	ds_store_b32 v35, v20 offset:3200
	;; [unrolled: 1-line block ×5, first 2 shown]
	s_and_saveexec_b32 s1, s0
	s_cbranch_execz .LBB0_23
; %bb.22:
	v_mul_f16_e32 v8, v65, v3
	v_mul_f16_e32 v9, v61, v24
	;; [unrolled: 1-line block ×5, first 2 shown]
	v_fma_f16 v7, v13, v7, -v8
	v_fma_f16 v8, v15, v29, -v9
	v_mul_f16_e32 v9, v64, v6
	v_mul_f16_e32 v17, v63, v30
	v_fma_f16 v6, v14, v6, -v11
	v_mul_f16_e32 v18, v62, v2
	v_fma_f16 v16, v60, v30, -v16
	v_fmac_f16_e32 v9, v14, v4
	v_mul_f16_e32 v14, v61, v29
	v_mul_f16_e32 v19, v62, v5
	v_fmac_f16_e32 v17, v60, v25
	v_fma_f16 v4, v12, v5, -v18
	v_add_f16_e32 v5, v16, v6
	v_fmac_f16_e32 v10, v13, v3
	v_fmac_f16_e32 v14, v15, v24
	;; [unrolled: 1-line block ×3, first 2 shown]
	v_add_f16_e32 v2, v17, v9
	v_fma_f16 v3, -0.5, v5, v4
	v_sub_f16_e32 v5, v9, v17
	v_add_f16_e32 v11, v8, v7
	v_add_f16_e32 v21, v14, v10
	v_fma_f16 v2, -0.5, v2, v19
	v_sub_f16_e32 v12, v6, v16
	v_fmamk_f16 v13, v5, 0xbaee, v3
	v_fmac_f16_e32 v3, 0x3aee, v5
	v_fma_f16 v11, -0.5, v11, v1
	v_add_f16_e32 v1, v7, v1
	v_add_f16_e32 v4, v6, v4
	v_fma_f16 v6, -0.5, v21, v0
	v_sub_f16_e32 v7, v7, v8
	v_add_f16_e32 v0, v10, v0
	v_add_f16_e32 v9, v9, v19
	v_sub_f16_e32 v15, v10, v14
	v_fmamk_f16 v18, v12, 0x3aee, v2
	v_mul_f16_e32 v5, -0.5, v13
	v_fmac_f16_e32 v2, 0xbaee, v12
	v_mul_f16_e32 v12, 0.5, v3
	v_mul_f16_e32 v3, 0xbaee, v3
	v_add_f16_e32 v1, v8, v1
	v_mul_f16_e32 v8, 0xbaee, v13
	v_add_f16_e32 v4, v16, v4
	v_fmamk_f16 v16, v7, 0x3aee, v6
	v_fmac_f16_e32 v6, 0xbaee, v7
	v_add_f16_e32 v0, v14, v0
	v_add_f16_e32 v7, v17, v9
	v_fmamk_f16 v20, v15, 0xbaee, v11
	v_fmac_f16_e32 v5, 0x3aee, v18
	v_fmac_f16_e32 v11, 0x3aee, v15
	v_fmac_f16_e32 v12, 0x3aee, v2
	v_fmac_f16_e32 v3, 0.5, v2
	v_fmac_f16_e32 v8, -0.5, v18
	v_sub_f16_e32 v18, v1, v4
	v_add_f16_e32 v1, v1, v4
	v_add_f16_e32 v4, v0, v7
	v_sub_f16_e32 v13, v20, v5
	v_add_f16_e32 v2, v20, v5
	v_add_f16_e32 v5, v11, v12
	v_add_f16_e32 v9, v6, v3
	v_sub_f16_e32 v10, v16, v8
	v_add_f16_e32 v8, v16, v8
	v_sub_f16_e32 v0, v0, v7
	v_sub_f16_e32 v15, v11, v12
	;; [unrolled: 1-line block ×3, first 2 shown]
	v_pack_b32_f16 v1, v4, v1
	v_pack_b32_f16 v4, v9, v5
	;; [unrolled: 1-line block ×6, first 2 shown]
	ds_store_b32 v35, v1 offset:960
	ds_store_b32 v35, v4 offset:2560
	;; [unrolled: 1-line block ×6, first 2 shown]
.LBB0_23:
	s_wait_alu 0xfffe
	s_or_b32 exec_lo, exec_lo, s1
	global_wb scope:SCOPE_SE
	s_wait_dscnt 0x0
	s_barrier_signal -1
	s_barrier_wait -1
	global_inv scope:SCOPE_SE
	ds_load_2addr_b32 v[5:6], v35 offset1:240
	v_mad_co_u64_u32 v[19:20], null, s10, v28, 0
	v_add_nc_u32_e32 v0, 0x940, v35
	v_mad_co_u64_u32 v[21:22], null, s8, v45, 0
	s_mov_b32 s6, 0xb4e81b4f
	s_mov_b32 s7, 0x3f3b4e81
	ds_load_2addr_b32 v[3:4], v0 offset0:8 offset1:248
	v_add_nc_u32_e32 v0, 0x12c0, v35
	ds_load_2addr_b32 v[1:2], v0 offset1:240
	s_wait_dscnt 0x2
	v_lshrrev_b32_e32 v7, 16, v5
	v_mul_f16_e32 v8, v52, v5
	s_delay_alu instid0(VALU_DEP_2) | instskip(NEXT) | instid1(VALU_DEP_2)
	v_mul_f16_e32 v0, v52, v7
	v_fma_f16 v7, v47, v7, -v8
	s_wait_dscnt 0x1
	v_lshrrev_b32_e32 v11, 16, v3
	v_mul_f16_e32 v9, v51, v3
	v_fmac_f16_e32 v0, v47, v5
	v_cvt_f32_f16_e32 v5, v7
	s_wait_dscnt 0x0
	v_lshrrev_b32_e32 v15, 16, v1
	s_delay_alu instid0(VALU_DEP_3) | instskip(NEXT) | instid1(VALU_DEP_3)
	v_cvt_f32_f16_e32 v0, v0
	v_cvt_f64_f32_e32 v[7:8], v5
	v_fma_f16 v5, v50, v11, -v9
	s_delay_alu instid0(VALU_DEP_3) | instskip(SKIP_1) | instid1(VALU_DEP_3)
	v_cvt_f64_f32_e32 v[9:10], v0
	v_mul_f16_e32 v0, v51, v11
	v_cvt_f32_f16_e32 v5, v5
	s_delay_alu instid0(VALU_DEP_2) | instskip(NEXT) | instid1(VALU_DEP_2)
	v_fmac_f16_e32 v0, v50, v3
	v_cvt_f64_f32_e32 v[11:12], v5
	v_mul_f16_e32 v3, v49, v15
	s_delay_alu instid0(VALU_DEP_3) | instskip(NEXT) | instid1(VALU_DEP_2)
	v_cvt_f32_f16_e32 v0, v0
	v_fmac_f16_e32 v3, v48, v1
	v_mul_f16_e32 v1, v49, v1
	s_delay_alu instid0(VALU_DEP_3) | instskip(NEXT) | instid1(VALU_DEP_3)
	v_cvt_f64_f32_e32 v[13:14], v0
	v_cvt_f32_f16_e32 v0, v3
	s_delay_alu instid0(VALU_DEP_3) | instskip(SKIP_1) | instid1(VALU_DEP_3)
	v_fma_f16 v1, v48, v15, -v1
	v_add_nc_u32_e32 v3, 0x1c00, v35
	v_cvt_f64_f32_e32 v[15:16], v0
	s_delay_alu instid0(VALU_DEP_3) | instskip(SKIP_4) | instid1(VALU_DEP_3)
	v_cvt_f32_f16_e32 v5, v1
	ds_load_2addr_b32 v[0:1], v3 offset0:8 offset1:248
	v_mov_b32_e32 v3, v20
	v_cvt_f64_f32_e32 v[17:18], v5
	v_mov_b32_e32 v5, v22
	v_mad_co_u64_u32 v[22:23], null, s11, v28, v[3:4]
	v_mul_f64_e32 v[7:8], s[6:7], v[7:8]
	s_delay_alu instid0(VALU_DEP_3) | instskip(SKIP_1) | instid1(VALU_DEP_4)
	v_mad_co_u64_u32 v[23:24], null, s9, v45, v[5:6]
	v_mul_f64_e32 v[9:10], s[6:7], v[9:10]
	v_mov_b32_e32 v20, v22
	s_delay_alu instid0(VALU_DEP_1) | instskip(SKIP_3) | instid1(VALU_DEP_1)
	v_lshlrev_b64_e32 v[19:20], 2, v[19:20]
	v_mul_f64_e32 v[11:12], s[6:7], v[11:12]
	s_wait_dscnt 0x0
	v_lshrrev_b32_e32 v3, 16, v0
	v_mul_f16_e32 v5, v46, v3
	v_mul_f64_e32 v[13:14], s[6:7], v[13:14]
	s_delay_alu instid0(VALU_DEP_2) | instskip(SKIP_2) | instid1(VALU_DEP_3)
	v_fmac_f16_e32 v5, v44, v0
	v_mul_f16_e32 v0, v46, v0
	v_mul_f64_e32 v[15:16], s[6:7], v[15:16]
	v_cvt_f32_f16_e32 v5, v5
	s_delay_alu instid0(VALU_DEP_3) | instskip(SKIP_1) | instid1(VALU_DEP_2)
	v_fma_f16 v0, v44, v3, -v0
	v_mul_f64_e32 v[17:18], s[6:7], v[17:18]
	v_cvt_f32_f16_e32 v0, v0
	v_bfe_u32 v25, v8, 20, 11
	v_mov_b32_e32 v22, v23
	v_add_co_u32 v23, s0, s4, v19
	s_wait_alu 0xf1ff
	v_add_co_ci_u32_e64 v24, s0, s5, v20, s0
	v_cvt_f64_f32_e32 v[19:20], v5
	v_and_or_b32 v5, 0x1ff, v8, v7
	v_and_or_b32 v9, 0x1ff, v10, v9
	v_lshrrev_b32_e32 v7, 8, v8
	v_bfe_u32 v29, v10, 20, 11
	v_and_or_b32 v11, 0x1ff, v12, v11
	v_cmp_ne_u32_e64 s0, 0, v5
	v_lshrrev_b32_e32 v28, 8, v10
	v_sub_nc_u32_e32 v30, 0x3f1, v25
	v_add_nc_u32_e32 v25, 0xfffffc10, v25
	v_sub_nc_u32_e32 v33, 0x3f1, v29
	s_wait_alu 0xf1ff
	v_cndmask_b32_e64 v5, 0, 1, s0
	v_cmp_ne_u32_e64 s0, 0, v9
	v_lshrrev_b32_e32 v31, 8, v12
	v_and_or_b32 v13, 0x1ff, v14, v13
	v_bfe_u32 v32, v12, 20, 11
	v_and_or_b32 v5, 0xffe, v7, v5
	s_wait_alu 0xf1ff
	v_cndmask_b32_e64 v9, 0, 1, s0
	v_cmp_ne_u32_e64 s0, 0, v11
	v_med3_i32 v7, v30, 0, 13
	v_lshrrev_b32_e32 v30, 8, v14
	v_and_or_b32 v15, 0x1ff, v16, v15
	v_and_or_b32 v9, 0xffe, v28, v9
	s_wait_alu 0xf1ff
	v_cndmask_b32_e64 v11, 0, 1, s0
	v_cmp_ne_u32_e64 s0, 0, v5
	v_med3_i32 v28, v33, 0, 13
	v_or_b32_e32 v33, 0x1000, v5
	v_lshl_or_b32 v49, v25, 12, v5
	v_bfe_u32 v34, v14, 20, 11
	s_wait_alu 0xf1ff
	v_cndmask_b32_e64 v5, 0, 1, s0
	v_cmp_ne_u32_e64 s0, 0, v13
	v_add_nc_u32_e32 v29, 0xfffffc10, v29
	v_sub_nc_u32_e32 v45, 0x3f1, v32
	v_lshrrev_b32_e32 v47, 8, v16
	v_sub_nc_u32_e32 v50, 0x3f1, v34
	s_wait_alu 0xf1ff
	v_cndmask_b32_e64 v13, 0, 1, s0
	v_cmp_ne_u32_e64 s0, 0, v15
	v_and_or_b32 v11, 0xffe, v31, v11
	v_or_b32_e32 v51, 0x1000, v9
	v_lshrrev_b32_e32 v53, v7, v33
	v_and_or_b32 v13, 0xffe, v30, v13
	s_wait_alu 0xf1ff
	v_cndmask_b32_e64 v15, 0, 1, s0
	v_cmp_ne_u32_e64 s0, 0, v9
	v_add_nc_u32_e32 v34, 0xfffffc10, v34
	v_med3_i32 v31, v45, 0, 13
	v_lshl_or_b32 v52, v29, 12, v9
	v_med3_i32 v30, v50, 0, 13
	s_wait_alu 0xf1ff
	v_cndmask_b32_e64 v9, 0, 1, s0
	v_or_b32_e32 v50, 0x1000, v11
	v_and_or_b32 v15, 0xffe, v47, v15
	v_lshrrev_b32_e32 v47, v28, v51
	v_lshlrev_b32_e32 v7, v7, v53
	v_cmp_ne_u32_e64 s0, 0, v13
	v_or_b32_e32 v55, 0x1000, v13
	v_lshl_or_b32 v56, v34, 12, v13
	v_lshlrev_b32_e32 v28, v28, v47
	v_lshrrev_b32_e32 v57, v31, v50
	s_wait_alu 0xf1ff
	v_cndmask_b32_e64 v13, 0, 1, s0
	v_cmp_ne_u32_e64 s0, v7, v33
	v_lshrrev_b32_e32 v33, v30, v55
	v_add_nc_u32_e32 v32, 0xfffffc10, v32
	v_lshlrev_b32_e32 v31, v31, v57
	v_cmp_gt_i32_e64 s4, 1, v34
	s_wait_alu 0xf1ff
	v_cndmask_b32_e64 v7, 0, 1, s0
	v_cmp_ne_u32_e64 s0, v28, v51
	v_lshlrev_b32_e32 v30, v30, v33
	v_lshl_or_b32 v54, v32, 12, v11
	v_lshl_or_b32 v9, v9, 9, 0x7c00
	v_or_b32_e32 v7, v53, v7
	s_wait_alu 0xf1ff
	v_cndmask_b32_e64 v28, 0, 1, s0
	v_cmp_ne_u32_e64 s0, v31, v50
	v_lshrrev_b32_e32 v10, 16, v10
	v_lshl_or_b32 v5, v5, 9, 0x7c00
	v_lshrrev_b32_e32 v8, 16, v8
	v_or_b32_e32 v28, v47, v28
	s_wait_alu 0xf1ff
	v_cndmask_b32_e64 v31, 0, 1, s0
	v_cmp_gt_i32_e64 s0, 1, v25
	v_lshlrev_b64_e32 v[21:22], 2, v[21:22]
	v_bfe_u32 v48, v16, 20, 11
	v_or_b32_e32 v51, 0x1000, v15
	v_or_b32_e32 v31, v57, v31
	s_wait_alu 0xf1ff
	v_cndmask_b32_e64 v7, v49, v7, s0
	v_cmp_gt_i32_e64 s0, 1, v29
	v_sub_nc_u32_e32 v45, 0x3f1, v48
	v_lshrrev_b32_e32 v12, 16, v12
	s_delay_alu instid0(VALU_DEP_4)
	v_and_b32_e32 v47, 7, v7
	s_wait_alu 0xf1ff
	v_cndmask_b32_e64 v28, v52, v28, s0
	v_cmp_ne_u32_e64 s0, v30, v55
	v_lshrrev_b32_e32 v7, 2, v7
	v_med3_i32 v45, v45, 0, 13
	v_cmp_lt_i32_e64 s2, 5, v47
	v_and_b32_e32 v49, 7, v28
	s_wait_alu 0xf1ff
	v_cndmask_b32_e64 v30, 0, 1, s0
	v_cmp_gt_i32_e64 s0, 1, v32
	v_lshrrev_b32_e32 v28, 2, v28
	v_cmp_eq_u32_e64 s3, 3, v47
	v_cmp_eq_u32_e64 s1, 3, v49
	v_or_b32_e32 v30, v33, v30
	s_wait_alu 0xf1ff
	v_cndmask_b32_e64 v31, v54, v31, s0
	v_cmp_lt_i32_e64 s0, 5, v49
	s_delay_alu instid0(VALU_DEP_3) | instskip(NEXT) | instid1(VALU_DEP_2)
	v_cndmask_b32_e64 v30, v56, v30, s4
	s_or_b32 s0, s1, s0
	v_cmp_eq_u32_e64 s1, 0x40f, v29
	s_wait_alu 0xfffe
	v_add_co_ci_u32_e64 v28, s0, 0, v28, s0
	s_or_b32 s0, s3, s2
	v_and_b32_e32 v33, 7, v30
	s_wait_alu 0xfffe
	v_add_co_ci_u32_e64 v7, s0, 0, v7, s0
	v_cmp_gt_i32_e64 s0, 31, v29
	v_cmp_eq_u32_e64 s2, 0x40f, v25
	s_wait_alu 0xf1ff
	s_delay_alu instid0(VALU_DEP_2) | instskip(SKIP_1) | instid1(VALU_DEP_2)
	v_cndmask_b32_e64 v28, 0x7c00, v28, s0
	v_cmp_gt_i32_e64 s0, 31, v25
	v_cndmask_b32_e64 v9, v28, v9, s1
	s_wait_alu 0xf1ff
	s_delay_alu instid0(VALU_DEP_2) | instskip(SKIP_3) | instid1(VALU_DEP_4)
	v_cndmask_b32_e64 v7, 0x7c00, v7, s0
	v_cmp_lt_i32_e64 s0, 5, v33
	v_cmp_eq_u32_e64 s1, 3, v33
	v_lshrrev_b32_e32 v28, 2, v30
	v_cndmask_b32_e64 v5, v7, v5, s2
	v_and_or_b32 v7, 0x8000, v10, v9
	s_delay_alu instid0(VALU_DEP_4)
	s_or_b32 s0, s1, s0
	v_lshl_or_b32 v10, v13, 9, 0x7c00
	s_wait_alu 0xfffe
	v_add_co_ci_u32_e64 v9, s0, 0, v28, s0
	v_and_or_b32 v5, 0x8000, v8, v5
	v_and_b32_e32 v7, 0xffff, v7
	v_cmp_gt_i32_e64 s0, 31, v34
	v_and_b32_e32 v13, 7, v31
	v_bfe_u32 v28, v18, 20, 11
	s_mul_u64 s[2:3], s[8:9], 0x258
	v_lshl_or_b32 v25, v5, 16, v7
	v_cndmask_b32_e64 v9, 0x7c00, v9, s0
	v_add_co_u32 v7, s0, v23, v21
	s_wait_alu 0xf1ff
	v_add_co_ci_u32_e64 v8, s0, v24, v22, s0
	v_cmp_eq_u32_e64 s0, 0x40f, v34
	v_cmp_eq_u32_e64 s1, 3, v13
	v_lshrrev_b32_e32 v21, v45, v51
	v_lshrrev_b32_e32 v22, 16, v14
	v_and_or_b32 v14, 0x1ff, v18, v17
	s_wait_alu 0xf1ff
	v_cndmask_b32_e64 v5, v9, v10, s0
	v_cmp_lt_i32_e64 s0, 5, v13
	v_lshrrev_b32_e32 v9, 2, v31
	v_lshlrev_b32_e32 v10, v45, v21
	v_add_nc_u32_e32 v23, 0xfffffc10, v48
	v_lshrrev_b32_e32 v24, 8, v18
	s_or_b32 s0, s1, s0
	v_and_or_b32 v5, 0x8000, v22, v5
	s_wait_alu 0xfffe
	v_add_co_ci_u32_e64 v3, s0, 0, v9, s0
	v_cmp_ne_u32_e64 s0, 0, v11
	v_lshl_or_b32 v17, v23, 12, v15
	v_and_b32_e32 v5, 0xffff, v5
	v_lshrrev_b32_e32 v18, 16, v18
	s_lshl_b64 s[16:17], s[2:3], 2
	v_cndmask_b32_e64 v11, 0, 1, s0
	v_cmp_ne_u32_e64 s0, v10, v51
	v_cvt_f64_f32_e32 v[9:10], v0
	s_wait_alu 0xf1ff
	s_delay_alu instid0(VALU_DEP_2) | instskip(SKIP_2) | instid1(VALU_DEP_1)
	v_cndmask_b32_e64 v13, 0, 1, s0
	v_cmp_gt_i32_e64 s0, 31, v32
	s_wait_alu 0xf1ff
	v_cndmask_b32_e64 v0, 0x7c00, v3, s0
	v_cmp_ne_u32_e64 s0, 0, v14
	v_lshl_or_b32 v3, v11, 9, 0x7c00
	v_or_b32_e32 v11, v21, v13
	v_mul_f64_e32 v[13:14], s[6:7], v[19:20]
	v_sub_nc_u32_e32 v19, 0x3f1, v28
	s_wait_alu 0xf1ff
	v_cndmask_b32_e64 v21, 0, 1, s0
	v_cmp_eq_u32_e64 s0, 0x40f, v32
	s_delay_alu instid0(VALU_DEP_3) | instskip(SKIP_1) | instid1(VALU_DEP_2)
	v_med3_i32 v19, v19, 0, 13
	s_wait_alu 0xf1ff
	v_cndmask_b32_e64 v0, v0, v3, s0
	v_cmp_gt_i32_e64 s0, 1, v23
	v_and_or_b32 v3, 0xffe, v24, v21
	s_delay_alu instid0(VALU_DEP_3) | instskip(SKIP_1) | instid1(VALU_DEP_3)
	v_and_or_b32 v0, 0x8000, v12, v0
	s_wait_alu 0xf1ff
	v_cndmask_b32_e64 v11, v17, v11, s0
	s_delay_alu instid0(VALU_DEP_3) | instskip(NEXT) | instid1(VALU_DEP_3)
	v_or_b32_e32 v17, 0x1000, v3
	v_lshl_or_b32 v0, v0, 16, v5
	s_delay_alu instid0(VALU_DEP_3) | instskip(NEXT) | instid1(VALU_DEP_3)
	v_and_b32_e32 v20, 7, v11
	v_lshrrev_b32_e32 v12, v19, v17
	v_lshrrev_b32_e32 v5, 2, v11
	s_delay_alu instid0(VALU_DEP_3) | instskip(SKIP_1) | instid1(VALU_DEP_4)
	v_cmp_lt_i32_e64 s0, 5, v20
	v_cmp_eq_u32_e64 s1, 3, v20
	v_lshlrev_b32_e32 v11, v19, v12
	v_lshrrev_b32_e32 v19, 16, v6
	v_mul_f64_e32 v[9:10], s[6:7], v[9:10]
	s_delay_alu instid0(VALU_DEP_4)
	s_or_b32 s0, s1, s0
	s_wait_alu 0xfffe
	v_add_co_ci_u32_e64 v5, s0, 0, v5, s0
	v_cmp_ne_u32_e64 s0, v11, v17
	v_add_nc_u32_e32 v17, 0xfffffc10, v28
	v_bfe_u32 v21, v14, 20, 11
	s_wait_alu 0xf1ff
	s_delay_alu instid0(VALU_DEP_3) | instskip(SKIP_1) | instid1(VALU_DEP_2)
	v_cndmask_b32_e64 v11, 0, 1, s0
	v_cmp_ne_u32_e64 s0, 0, v15
	v_or_b32_e32 v11, v12, v11
	s_wait_alu 0xf1ff
	s_delay_alu instid0(VALU_DEP_2) | instskip(SKIP_2) | instid1(VALU_DEP_3)
	v_cndmask_b32_e64 v15, 0, 1, s0
	v_cmp_gt_i32_e64 s0, 31, v23
	v_lshl_or_b32 v12, v17, 12, v3
	v_lshl_or_b32 v15, v15, 9, 0x7c00
	s_wait_alu 0xf1ff
	s_delay_alu instid0(VALU_DEP_3) | instskip(SKIP_2) | instid1(VALU_DEP_1)
	v_cndmask_b32_e64 v5, 0x7c00, v5, s0
	v_cmp_gt_i32_e64 s0, 1, v17
	s_wait_alu 0xf1ff
	v_cndmask_b32_e64 v20, v12, v11, s0
	v_and_or_b32 v11, 0x1ff, v14, v13
	v_mul_f16_e32 v12, v43, v19
	v_cmp_eq_u32_e64 s0, 0x40f, v23
	v_lshrrev_b32_e32 v13, 16, v16
	v_lshrrev_b32_e32 v16, 8, v14
	;; [unrolled: 1-line block ×3, first 2 shown]
	v_fmac_f16_e32 v12, v42, v6
	s_wait_alu 0xf1ff
	v_cndmask_b32_e64 v5, v5, v15, s0
	v_cmp_ne_u32_e64 s0, 0, v11
	v_and_b32_e32 v15, 7, v20
	v_mul_f16_e32 v6, v43, v6
	v_cvt_f32_f16_e32 v12, v12
	v_and_or_b32 v13, 0x8000, v13, v5
	s_wait_alu 0xf1ff
	v_cndmask_b32_e64 v11, 0, 1, s0
	v_cmp_lt_i32_e64 s0, 5, v15
	v_cmp_eq_u32_e64 s1, 3, v15
	v_lshrrev_b32_e32 v5, 2, v20
	v_sub_nc_u32_e32 v15, 0x3f1, v21
	v_and_or_b32 v22, 0xffe, v16, v11
	v_cvt_f64_f32_e32 v[11:12], v12
	s_or_b32 s0, s1, s0
	v_and_or_b32 v9, 0x1ff, v10, v9
	s_wait_alu 0xfffe
	v_add_co_ci_u32_e64 v5, s0, 0, v5, s0
	v_cmp_ne_u32_e64 s0, 0, v3
	v_or_b32_e32 v16, 0x1000, v22
	v_med3_i32 v15, v15, 0, 13
	v_add_nc_u32_e32 v21, 0xfffffc10, v21
	v_and_b32_e32 v13, 0xffff, v13
	s_wait_alu 0xf1ff
	v_cndmask_b32_e64 v3, 0, 1, s0
	v_cmp_gt_i32_e64 s0, 31, v17
	v_lshrrev_b32_e32 v20, v15, v16
	s_delay_alu instid0(VALU_DEP_3) | instskip(SKIP_1) | instid1(VALU_DEP_3)
	v_lshl_or_b32 v3, v3, 9, 0x7c00
	s_wait_alu 0xf1ff
	v_cndmask_b32_e64 v23, 0x7c00, v5, s0
	v_fma_f16 v5, v42, v19, -v6
	v_lshlrev_b32_e32 v6, v15, v20
	v_cmp_ne_u32_e64 s0, 0, v9
	v_lshrrev_b32_e32 v15, 8, v10
	v_bfe_u32 v19, v10, 20, 11
	v_cvt_f32_f16_e32 v5, v5
	s_wait_alu 0xf1ff
	v_cndmask_b32_e64 v9, 0, 1, s0
	v_cmp_ne_u32_e64 s0, v6, v16
	s_delay_alu instid0(VALU_DEP_3) | instskip(NEXT) | instid1(VALU_DEP_3)
	v_cvt_f64_f32_e32 v[5:6], v5
	v_and_or_b32 v9, 0xffe, v15, v9
	s_wait_alu 0xf1ff
	s_delay_alu instid0(VALU_DEP_3) | instskip(SKIP_3) | instid1(VALU_DEP_4)
	v_cndmask_b32_e64 v16, 0, 1, s0
	v_sub_nc_u32_e32 v15, 0x3f1, v19
	v_cmp_eq_u32_e64 s0, 0x40f, v17
	v_lshl_or_b32 v17, v21, 12, v22
	v_or_b32_e32 v16, v20, v16
	v_or_b32_e32 v20, 0x1000, v9
	s_wait_alu 0xf1ff
	v_cndmask_b32_e64 v3, v23, v3, s0
	v_mul_f64_e32 v[11:12], s[6:7], v[11:12]
	v_med3_i32 v23, v15, 0, 13
	v_cmp_gt_i32_e64 s0, 1, v21
	s_delay_alu instid0(VALU_DEP_4) | instskip(NEXT) | instid1(VALU_DEP_3)
	v_and_or_b32 v3, 0x8000, v18, v3
	v_lshrrev_b32_e32 v24, v23, v20
	s_wait_alu 0xf1ff
	s_delay_alu instid0(VALU_DEP_3)
	v_cndmask_b32_e64 v17, v17, v16, s0
	v_add_co_u32 v15, s0, v7, s16
	s_wait_alu 0xf1ff
	v_add_co_ci_u32_e64 v16, s0, s17, v8, s0
	v_lshlrev_b32_e32 v23, v23, v24
	v_and_b32_e32 v18, 7, v17
	s_clause 0x1
	global_store_b32 v[7:8], v25, off
	global_store_b32 v[15:16], v0, off
	v_lshl_or_b32 v0, v3, 16, v13
	v_lshrrev_b32_e32 v7, 2, v17
	v_cmp_ne_u32_e64 s1, v23, v20
	v_cmp_lt_i32_e64 s0, 5, v18
	v_add_nc_u32_e32 v13, 0xfffffc10, v19
	v_lshrrev_b32_e32 v19, 16, v4
	s_wait_alu 0xf1ff
	v_cndmask_b32_e64 v3, 0, 1, s1
	v_cmp_eq_u32_e64 s1, 3, v18
	v_lshl_or_b32 v8, v13, 12, v9
	v_mul_f16_e32 v17, v41, v19
	s_delay_alu instid0(VALU_DEP_4) | instskip(NEXT) | instid1(VALU_DEP_4)
	v_or_b32_e32 v3, v24, v3
	s_or_b32 s0, s1, s0
	v_mul_f64_e32 v[5:6], s[6:7], v[5:6]
	s_wait_alu 0xfffe
	v_add_co_ci_u32_e64 v18, s0, 0, v7, s0
	v_cmp_gt_i32_e64 s0, 1, v13
	v_fmac_f16_e32 v17, v40, v4
	s_wait_alu 0xf1ff
	s_delay_alu instid0(VALU_DEP_2)
	v_cndmask_b32_e64 v3, v8, v3, s0
	v_add_co_u32 v7, s0, v15, s16
	s_wait_alu 0xf1ff
	v_add_co_ci_u32_e64 v8, s0, s17, v16, s0
	v_cmp_gt_i32_e64 s0, 31, v21
	v_and_or_b32 v11, 0x1ff, v12, v11
	v_and_b32_e32 v20, 7, v3
	v_cvt_f32_f16_e32 v15, v17
	v_lshrrev_b32_e32 v3, 2, v3
	s_wait_alu 0xf1ff
	v_cndmask_b32_e64 v18, 0x7c00, v18, s0
	v_cmp_ne_u32_e64 s0, 0, v22
	v_cmp_ne_u32_e64 s1, 0, v11
	v_cvt_f64_f32_e32 v[15:16], v15
	v_lshrrev_b32_e32 v22, 8, v12
	v_bfe_u32 v23, v12, 20, 11
	s_wait_alu 0xf1ff
	v_cndmask_b32_e64 v17, 0, 1, s0
	v_cmp_lt_i32_e64 s0, 5, v20
	v_cndmask_b32_e64 v11, 0, 1, s1
	v_cmp_eq_u32_e64 s1, 3, v20
	v_sub_nc_u32_e32 v20, 0x3f1, v23
	v_lshl_or_b32 v17, v17, 9, 0x7c00
	v_add_nc_u32_e32 v23, 0xfffffc10, v23
	v_and_or_b32 v11, 0xffe, v22, v11
	s_or_b32 s0, s1, s0
	v_med3_i32 v20, v20, 0, 13
	s_wait_alu 0xfffe
	v_add_co_ci_u32_e64 v3, s0, 0, v3, s0
	v_cmp_ne_u32_e64 s0, 0, v9
	v_or_b32_e32 v22, 0x1000, v11
	v_and_or_b32 v5, 0x1ff, v6, v5
	global_store_b32 v[7:8], v0, off
	v_lshrrev_b32_e32 v12, 16, v12
	s_wait_alu 0xf1ff
	v_cndmask_b32_e64 v9, 0, 1, s0
	v_cmp_eq_u32_e64 s0, 0x40f, v21
	s_delay_alu instid0(VALU_DEP_2) | instskip(SKIP_1) | instid1(VALU_DEP_2)
	v_lshl_or_b32 v9, v9, 9, 0x7c00
	s_wait_alu 0xf1ff
	v_cndmask_b32_e64 v17, v18, v17, s0
	v_cmp_gt_i32_e64 s0, 31, v13
	v_lshrrev_b32_e32 v18, v20, v22
	s_delay_alu instid0(VALU_DEP_3) | instskip(SKIP_1) | instid1(VALU_DEP_3)
	v_and_or_b32 v14, 0x8000, v14, v17
	s_wait_alu 0xf1ff
	v_cndmask_b32_e64 v3, 0x7c00, v3, s0
	v_cmp_eq_u32_e64 s0, 0x40f, v13
	s_delay_alu instid0(VALU_DEP_3) | instskip(SKIP_1) | instid1(VALU_DEP_2)
	v_and_b32_e32 v14, 0xffff, v14
	s_wait_alu 0xf1ff
	v_cndmask_b32_e64 v13, v3, v9, s0
	v_cmp_ne_u32_e64 s0, 0, v5
	v_lshlrev_b32_e32 v3, v20, v18
	v_lshrrev_b32_e32 v9, 8, v6
	v_bfe_u32 v20, v6, 20, 11
	s_wait_alu 0xf1ff
	v_cndmask_b32_e64 v5, 0, 1, s0
	v_cmp_ne_u32_e64 s0, v3, v22
	v_mul_f16_e32 v22, v41, v4
	v_mul_f64_e32 v[3:4], s[6:7], v[15:16]
	s_delay_alu instid0(VALU_DEP_4)
	v_and_or_b32 v5, 0xffe, v9, v5
	v_sub_nc_u32_e32 v9, 0x3f1, v20
	s_wait_alu 0xf1ff
	v_cndmask_b32_e64 v21, 0, 1, s0
	v_fma_f16 v15, v40, v19, -v22
	v_cmp_gt_i32_e64 s0, 1, v23
	v_or_b32_e32 v16, 0x1000, v5
	v_med3_i32 v19, v9, 0, 13
	v_or_b32_e32 v9, v18, v21
	v_lshl_or_b32 v18, v23, 12, v11
	v_cvt_f32_f16_e32 v15, v15
	v_lshrrev_b32_e32 v21, 16, v10
	v_lshrrev_b32_e32 v22, v19, v16
	s_wait_alu 0xf1ff
	v_cndmask_b32_e64 v18, v18, v9, s0
	v_cvt_f64_f32_e32 v[9:10], v15
	v_and_or_b32 v0, 0x8000, v21, v13
	v_lshlrev_b32_e32 v15, v19, v22
	s_delay_alu instid0(VALU_DEP_4) | instskip(NEXT) | instid1(VALU_DEP_3)
	v_and_b32_e32 v13, 7, v18
	v_lshl_or_b32 v19, v0, 16, v14
	s_delay_alu instid0(VALU_DEP_3) | instskip(SKIP_1) | instid1(VALU_DEP_4)
	v_cmp_ne_u32_e64 s0, v15, v16
	v_add_nc_u32_e32 v16, 0xfffffc10, v20
	v_cmp_eq_u32_e64 s1, 3, v13
	s_wait_alu 0xf1ff
	s_delay_alu instid0(VALU_DEP_3)
	v_cndmask_b32_e64 v15, 0, 1, s0
	v_cmp_lt_i32_e64 s0, 5, v13
	v_lshrrev_b32_e32 v13, 2, v18
	v_lshl_or_b32 v17, v16, 12, v5
	v_lshrrev_b32_e32 v18, 16, v2
	v_or_b32_e32 v15, v22, v15
	s_or_b32 s0, s1, s0
	s_wait_alu 0xfffe
	v_add_co_ci_u32_e64 v13, s0, 0, v13, s0
	v_cmp_gt_i32_e64 s0, 1, v16
	v_and_or_b32 v3, 0x1ff, v4, v3
	v_bfe_u32 v20, v4, 20, 11
	s_wait_alu 0xf1ff
	s_delay_alu instid0(VALU_DEP_3) | instskip(SKIP_3) | instid1(VALU_DEP_3)
	v_cndmask_b32_e64 v15, v17, v15, s0
	v_mul_f16_e32 v17, v39, v18
	v_cmp_gt_i32_e64 s0, 31, v23
	v_cmp_ne_u32_e64 s2, 0, v3
	v_fmac_f16_e32 v17, v38, v2
	s_wait_alu 0xf1ff
	s_delay_alu instid0(VALU_DEP_3)
	v_cndmask_b32_e64 v0, 0x7c00, v13, s0
	v_and_b32_e32 v13, 7, v15
	v_cmp_ne_u32_e64 s0, 0, v11
	v_lshrrev_b32_e32 v15, 2, v15
	v_cvt_f32_f16_e32 v14, v17
	v_cndmask_b32_e64 v3, 0, 1, s2
	v_cmp_eq_u32_e64 s1, 3, v13
	s_wait_alu 0xf1ff
	v_cndmask_b32_e64 v11, 0, 1, s0
	v_cmp_lt_i32_e64 s0, 5, v13
	v_cvt_f64_f32_e32 v[13:14], v14
	v_lshrrev_b32_e32 v17, 8, v4
	v_mul_f64_e32 v[9:10], s[6:7], v[9:10]
	v_lshl_or_b32 v11, v11, 9, 0x7c00
	s_or_b32 s0, s1, s0
	v_lshrrev_b32_e32 v4, 16, v4
	s_wait_alu 0xfffe
	v_add_co_ci_u32_e64 v15, s0, 0, v15, s0
	v_cmp_ne_u32_e64 s0, 0, v5
	v_and_or_b32 v17, 0xffe, v17, v3
	v_sub_nc_u32_e32 v3, 0x3f1, v20
	s_wait_alu 0xf1ff
	s_delay_alu instid0(VALU_DEP_3) | instskip(SKIP_3) | instid1(VALU_DEP_4)
	v_cndmask_b32_e64 v5, 0, 1, s0
	v_cmp_gt_i32_e64 s0, 31, v16
	v_or_b32_e32 v21, 0x1000, v17
	v_med3_i32 v3, v3, 0, 13
	v_lshl_or_b32 v5, v5, 9, 0x7c00
	s_wait_alu 0xf1ff
	v_cndmask_b32_e64 v15, 0x7c00, v15, s0
	v_cmp_eq_u32_e64 s0, 0x40f, v23
	s_wait_alu 0xf1ff
	s_delay_alu instid0(VALU_DEP_1) | instskip(SKIP_3) | instid1(VALU_DEP_4)
	v_cndmask_b32_e64 v0, v0, v11, s0
	v_lshrrev_b32_e32 v11, v3, v21
	v_cmp_eq_u32_e64 s0, 0x40f, v16
	v_lshrrev_b32_e32 v16, 16, v6
	v_and_or_b32 v0, 0x8000, v12, v0
	s_delay_alu instid0(VALU_DEP_4)
	v_lshlrev_b32_e32 v3, v3, v11
	s_wait_alu 0xf1ff
	v_cndmask_b32_e64 v15, v15, v5, s0
	v_add_co_u32 v5, s0, v7, s16
	s_wait_alu 0xf1ff
	v_add_co_ci_u32_e64 v6, s0, s17, v8, s0
	v_cmp_ne_u32_e64 s0, v3, v21
	v_and_or_b32 v12, 0x8000, v16, v15
	v_add_nc_u32_e32 v15, 0xfffffc10, v20
	v_mul_f16_e32 v8, v39, v2
	v_and_or_b32 v9, 0x1ff, v10, v9
	s_wait_alu 0xf1ff
	v_cndmask_b32_e64 v3, 0, 1, s0
	s_movk_i32 s0, 0xf9e8
	s_mov_b32 s1, -1
	v_fma_f16 v8, v38, v18, -v8
	s_wait_alu 0xfffe
	s_mul_u64 s[2:3], s[8:9], s[0:1]
	v_or_b32_e32 v7, v11, v3
	v_mul_f64_e32 v[2:3], s[6:7], v[13:14]
	v_lshl_or_b32 v11, v15, 12, v17
	v_cmp_gt_i32_e64 s0, 1, v15
	v_lshrrev_b32_e32 v13, 8, v10
	v_bfe_u32 v14, v10, 20, 11
	v_and_b32_e32 v0, 0xffff, v0
	v_lshrrev_b32_e32 v18, 16, v1
	s_wait_alu 0xf1ff
	v_cndmask_b32_e64 v11, v11, v7, s0
	v_cmp_ne_u32_e64 s0, 0, v9
	v_cvt_f32_f16_e32 v7, v8
	v_lshl_or_b32 v20, v12, 16, v0
	s_wait_alu 0xfffe
	s_lshl_b64 s[4:5], s[2:3], 2
	v_and_b32_e32 v16, 7, v11
	v_cndmask_b32_e64 v9, 0, 1, s0
	v_cvt_f64_f32_e32 v[7:8], v7
	v_lshrrev_b32_e32 v11, 2, v11
	v_lshrrev_b32_e32 v10, 16, v10
	v_cmp_lt_i32_e64 s0, 5, v16
	v_and_or_b32 v9, 0xffe, v13, v9
	v_sub_nc_u32_e32 v13, 0x3f1, v14
	v_cmp_eq_u32_e64 s1, 3, v16
	s_delay_alu instid0(VALU_DEP_3) | instskip(NEXT) | instid1(VALU_DEP_3)
	v_or_b32_e32 v0, 0x1000, v9
	v_med3_i32 v12, v13, 0, 13
	v_mul_f16_e32 v13, v37, v18
	s_delay_alu instid0(VALU_DEP_4)
	s_or_b32 s0, s1, s0
	s_wait_alu 0xfffe
	v_add_co_ci_u32_e64 v11, s0, 0, v11, s0
	v_lshrrev_b32_e32 v16, v12, v0
	v_fmac_f16_e32 v13, v36, v1
	v_cmp_ne_u32_e64 s0, 0, v17
	v_mul_f16_e32 v1, v37, v1
	s_delay_alu instid0(VALU_DEP_4) | instskip(NEXT) | instid1(VALU_DEP_4)
	v_lshlrev_b32_e32 v21, v12, v16
	v_cvt_f32_f16_e32 v12, v13
	s_wait_alu 0xf1ff
	v_cndmask_b32_e64 v17, 0, 1, s0
	v_cmp_gt_i32_e64 s0, 31, v15
	v_and_or_b32 v2, 0x1ff, v3, v2
	v_bfe_u32 v22, v3, 20, 11
	v_fma_f16 v18, v36, v18, -v1
	v_lshl_or_b32 v17, v17, 9, 0x7c00
	s_wait_alu 0xf1ff
	v_cndmask_b32_e64 v13, 0x7c00, v11, s0
	v_cvt_f64_f32_e32 v[11:12], v12
	v_cmp_ne_u32_e64 s0, v21, v0
	v_add_nc_u32_e32 v21, 0xfffffc10, v14
	v_lshrrev_b32_e32 v14, 8, v3
	v_lshrrev_b32_e32 v3, 16, v3
	s_wait_alu 0xf1ff
	v_cndmask_b32_e64 v0, 0, 1, s0
	v_cmp_ne_u32_e64 s0, 0, v2
	v_lshl_or_b32 v23, v21, 12, v9
	s_delay_alu instid0(VALU_DEP_3) | instskip(SKIP_1) | instid1(VALU_DEP_3)
	v_or_b32_e32 v16, v16, v0
	s_wait_alu 0xf1ff
	v_cndmask_b32_e64 v2, 0, 1, s0
	v_cmp_gt_i32_e64 s0, 1, v21
	v_mul_f64_e32 v[0:1], s[6:7], v[7:8]
	v_sub_nc_u32_e32 v7, 0x3f1, v22
	v_cvt_f32_f16_e32 v8, v18
	v_and_or_b32 v2, 0xffe, v14, v2
	s_wait_alu 0xf1ff
	v_cndmask_b32_e64 v16, v23, v16, s0
	v_cmp_eq_u32_e64 s0, 0x40f, v15
	v_med3_i32 v23, v7, 0, 13
	v_cvt_f64_f32_e32 v[7:8], v8
	v_or_b32_e32 v18, 0x1000, v2
	s_wait_alu 0xf1ff
	v_cndmask_b32_e64 v15, v13, v17, s0
	v_and_b32_e32 v17, 7, v16
	v_add_co_u32 v13, s0, v5, s4
	v_lshrrev_b32_e32 v24, v23, v18
	s_wait_alu 0xf1ff
	v_add_co_ci_u32_e64 v14, s0, s5, v6, s0
	v_cmp_lt_i32_e64 s0, 5, v17
	v_cmp_eq_u32_e64 s1, 3, v17
	v_and_or_b32 v4, 0x8000, v4, v15
	v_lshrrev_b32_e32 v15, 2, v16
	v_lshlrev_b32_e32 v23, v23, v24
	v_add_nc_u32_e32 v17, 0xfffffc10, v22
	s_or_b32 s0, s1, s0
	v_mul_f64_e32 v[11:12], s[6:7], v[11:12]
	s_wait_alu 0xfffe
	v_add_co_ci_u32_e64 v15, s0, 0, v15, s0
	v_cmp_ne_u32_e64 s2, v23, v18
	v_cmp_ne_u32_e64 s0, 0, v9
	v_lshl_or_b32 v18, v17, 12, v2
	v_and_b32_e32 v4, 0xffff, v4
	s_wait_alu 0xf1ff
	v_cndmask_b32_e64 v16, 0, 1, s2
	v_cndmask_b32_e64 v9, 0, 1, s0
	v_cmp_gt_i32_e64 s0, 31, v21
	s_delay_alu instid0(VALU_DEP_3) | instskip(NEXT) | instid1(VALU_DEP_3)
	v_or_b32_e32 v16, v24, v16
	v_lshl_or_b32 v9, v9, 9, 0x7c00
	s_wait_alu 0xf1ff
	s_delay_alu instid0(VALU_DEP_3) | instskip(SKIP_3) | instid1(VALU_DEP_2)
	v_cndmask_b32_e64 v15, 0x7c00, v15, s0
	v_cmp_gt_i32_e64 s0, 1, v17
	v_and_or_b32 v0, 0x1ff, v1, v0
	s_wait_alu 0xf1ff
	v_cndmask_b32_e64 v16, v18, v16, s0
	v_cmp_eq_u32_e64 s0, 0x40f, v21
	v_lshrrev_b32_e32 v18, 8, v1
	v_mul_f64_e32 v[7:8], s[6:7], v[7:8]
	v_bfe_u32 v21, v1, 20, 11
	v_lshrrev_b32_e32 v1, 16, v1
	s_wait_alu 0xf1ff
	v_cndmask_b32_e64 v9, v15, v9, s0
	v_cmp_ne_u32_e64 s0, 0, v0
	v_and_b32_e32 v15, 7, v16
	s_delay_alu instid0(VALU_DEP_3) | instskip(SKIP_1) | instid1(VALU_DEP_3)
	v_and_or_b32 v9, 0x8000, v10, v9
	s_wait_alu 0xf1ff
	v_cndmask_b32_e64 v0, 0, 1, s0
	s_delay_alu instid0(VALU_DEP_3)
	v_cmp_lt_i32_e64 s0, 5, v15
	v_cmp_eq_u32_e64 s1, 3, v15
	v_sub_nc_u32_e32 v10, 0x3f1, v21
	v_lshl_or_b32 v4, v9, 16, v4
	v_lshrrev_b32_e32 v9, 2, v16
	v_and_or_b32 v0, 0xffe, v18, v0
	s_or_b32 s0, s1, s0
	v_med3_i32 v10, v10, 0, 13
	v_and_or_b32 v11, 0x1ff, v12, v11
	s_wait_alu 0xfffe
	v_add_co_ci_u32_e64 v9, s0, 0, v9, s0
	v_or_b32_e32 v15, 0x1000, v0
	v_cmp_ne_u32_e64 s0, 0, v2
	v_lshrrev_b32_e32 v18, 8, v12
	v_bfe_u32 v22, v12, 20, 11
	s_delay_alu instid0(VALU_DEP_4) | instskip(SKIP_3) | instid1(VALU_DEP_3)
	v_lshrrev_b32_e32 v16, v10, v15
	s_wait_alu 0xf1ff
	v_cndmask_b32_e64 v2, 0, 1, s0
	v_cmp_gt_i32_e64 s0, 31, v17
	v_lshlrev_b32_e32 v10, v10, v16
	s_delay_alu instid0(VALU_DEP_3) | instskip(SKIP_1) | instid1(VALU_DEP_3)
	v_lshl_or_b32 v2, v2, 9, 0x7c00
	s_wait_alu 0xf1ff
	v_cndmask_b32_e64 v9, 0x7c00, v9, s0
	v_cmp_ne_u32_e64 s0, 0, v11
	v_and_or_b32 v7, 0x1ff, v8, v7
	s_wait_alu 0xf1ff
	s_delay_alu instid0(VALU_DEP_2) | instskip(SKIP_3) | instid1(VALU_DEP_4)
	v_cndmask_b32_e64 v11, 0, 1, s0
	v_cmp_ne_u32_e64 s0, v10, v15
	v_add_nc_u32_e32 v15, 0xfffffc10, v21
	v_bfe_u32 v21, v8, 20, 11
	v_and_or_b32 v11, 0xffe, v18, v11
	s_wait_alu 0xf1ff
	v_cndmask_b32_e64 v10, 0, 1, s0
	v_sub_nc_u32_e32 v18, 0x3f1, v22
	v_cmp_eq_u32_e64 s0, 0x40f, v17
	s_delay_alu instid0(VALU_DEP_2) | instskip(SKIP_1) | instid1(VALU_DEP_2)
	v_med3_i32 v17, v18, 0, 13
	s_wait_alu 0xf1ff
	v_cndmask_b32_e64 v2, v9, v2, s0
	v_or_b32_e32 v9, v16, v10
	v_lshl_or_b32 v10, v15, 12, v0
	v_or_b32_e32 v16, 0x1000, v11
	v_cmp_gt_i32_e64 s0, 1, v15
	v_lshrrev_b32_e32 v18, 8, v8
	v_and_or_b32 v2, 0x8000, v3, v2
	v_lshrrev_b32_e32 v8, 16, v8
	s_wait_alu 0xf1ff
	v_cndmask_b32_e64 v9, v10, v9, s0
	v_lshrrev_b32_e32 v10, v17, v16
	v_cmp_ne_u32_e64 s0, 0, v7
	s_delay_alu instid0(VALU_DEP_3) | instskip(NEXT) | instid1(VALU_DEP_3)
	v_and_b32_e32 v23, 7, v9
	v_lshlrev_b32_e32 v17, v17, v10
	s_wait_alu 0xf1ff
	s_delay_alu instid0(VALU_DEP_3) | instskip(SKIP_3) | instid1(VALU_DEP_4)
	v_cndmask_b32_e64 v7, 0, 1, s0
	v_lshrrev_b32_e32 v9, 2, v9
	v_cmp_lt_i32_e64 s0, 5, v23
	v_cmp_ne_u32_e64 s1, v17, v16
	v_and_or_b32 v3, 0xffe, v18, v7
	v_sub_nc_u32_e32 v7, 0x3f1, v21
	v_add_nc_u32_e32 v18, 0xfffffc10, v22
	s_wait_alu 0xf1ff
	v_cndmask_b32_e64 v16, 0, 1, s1
	v_cmp_eq_u32_e64 s1, 3, v23
	v_or_b32_e32 v17, 0x1000, v3
	v_med3_i32 v7, v7, 0, 13
	v_lshl_or_b32 v22, v18, 12, v11
	v_or_b32_e32 v10, v10, v16
	s_or_b32 s0, s1, s0
	s_wait_alu 0xfffe
	v_add_co_ci_u32_e64 v9, s0, 0, v9, s0
	v_lshrrev_b32_e32 v16, v7, v17
	v_cmp_gt_i32_e64 s0, 1, v18
	s_delay_alu instid0(VALU_DEP_2) | instskip(SKIP_1) | instid1(VALU_DEP_2)
	v_lshlrev_b32_e32 v7, v7, v16
	s_wait_alu 0xf1ff
	v_cndmask_b32_e64 v10, v22, v10, s0
	v_cmp_ne_u32_e64 s0, 0, v0
	s_wait_alu 0xf1ff
	s_delay_alu instid0(VALU_DEP_1) | instskip(SKIP_3) | instid1(VALU_DEP_4)
	v_cndmask_b32_e64 v0, 0, 1, s0
	v_cmp_ne_u32_e64 s0, v7, v17
	v_add_nc_u32_e32 v17, 0xfffffc10, v21
	v_and_b32_e32 v21, 7, v10
	v_lshl_or_b32 v0, v0, 9, 0x7c00
	s_wait_alu 0xf1ff
	v_cndmask_b32_e64 v7, 0, 1, s0
	v_cmp_gt_i32_e64 s0, 31, v15
	v_cmp_gt_i32_e64 s2, 1, v17
	v_cmp_eq_u32_e64 s1, 3, v21
	s_delay_alu instid0(VALU_DEP_4) | instskip(SKIP_4) | instid1(VALU_DEP_3)
	v_or_b32_e32 v7, v16, v7
	v_lshl_or_b32 v16, v17, 12, v3
	s_wait_alu 0xf1ff
	v_cndmask_b32_e64 v9, 0x7c00, v9, s0
	v_cmp_lt_i32_e64 s0, 5, v21
	v_cndmask_b32_e64 v7, v16, v7, s2
	v_cmp_eq_u32_e64 s2, 0x40f, v15
	s_delay_alu instid0(VALU_DEP_3) | instskip(NEXT) | instid1(VALU_DEP_1)
	s_or_b32 s0, s1, s0
	v_cndmask_b32_e64 v0, v9, v0, s2
	v_lshrrev_b32_e32 v9, 2, v10
	v_and_b32_e32 v10, 7, v7
	v_lshrrev_b32_e32 v7, 2, v7
	v_cmp_gt_i32_e64 s2, 31, v18
	v_and_or_b32 v0, 0x8000, v1, v0
	s_wait_alu 0xfffe
	v_add_co_ci_u32_e64 v9, s0, 0, v9, s0
	v_cmp_ne_u32_e64 s0, 0, v11
	v_cmp_eq_u32_e64 s1, 3, v10
	v_and_b32_e32 v1, 0xffff, v2
	s_wait_alu 0xf1ff
	v_cndmask_b32_e64 v9, 0x7c00, v9, s2
	v_cndmask_b32_e64 v11, 0, 1, s0
	v_cmp_lt_i32_e64 s0, 5, v10
	s_delay_alu instid0(VALU_DEP_2) | instskip(NEXT) | instid1(VALU_DEP_2)
	v_lshl_or_b32 v10, v11, 9, 0x7c00
	s_or_b32 s0, s1, s0
	s_wait_alu 0xfffe
	v_add_co_ci_u32_e64 v7, s0, 0, v7, s0
	v_cmp_ne_u32_e64 s0, 0, v3
	s_wait_alu 0xf1ff
	s_delay_alu instid0(VALU_DEP_1) | instskip(SKIP_1) | instid1(VALU_DEP_2)
	v_cndmask_b32_e64 v3, 0, 1, s0
	v_cmp_eq_u32_e64 s0, 0x40f, v18
	v_lshl_or_b32 v3, v3, 9, 0x7c00
	s_wait_alu 0xf1ff
	s_delay_alu instid0(VALU_DEP_2) | instskip(SKIP_3) | instid1(VALU_DEP_2)
	v_cndmask_b32_e64 v9, v9, v10, s0
	v_cmp_gt_i32_e64 s0, 31, v17
	v_lshrrev_b32_e32 v10, 16, v12
	s_wait_alu 0xf1ff
	v_cndmask_b32_e64 v7, 0x7c00, v7, s0
	v_cmp_eq_u32_e64 s0, 0x40f, v17
	s_delay_alu instid0(VALU_DEP_3) | instskip(SKIP_2) | instid1(VALU_DEP_3)
	v_and_or_b32 v9, 0x8000, v10, v9
	v_lshl_or_b32 v10, v0, 16, v1
	s_wait_alu 0xf1ff
	v_cndmask_b32_e64 v7, v7, v3, s0
	v_add_co_u32 v2, s0, v13, s16
	s_wait_alu 0xf1ff
	v_add_co_ci_u32_e64 v3, s0, s17, v14, s0
	s_delay_alu instid0(VALU_DEP_3) | instskip(SKIP_4) | instid1(VALU_DEP_3)
	v_and_or_b32 v0, 0x8000, v8, v7
	v_and_b32_e32 v1, 0xffff, v9
	v_add_co_u32 v7, s0, v2, s16
	s_wait_alu 0xf1ff
	v_add_co_ci_u32_e64 v8, s0, s17, v3, s0
	v_lshl_or_b32 v9, v0, 16, v1
	s_delay_alu instid0(VALU_DEP_3) | instskip(SKIP_1) | instid1(VALU_DEP_3)
	v_add_co_u32 v0, s0, v7, s16
	s_wait_alu 0xf1ff
	v_add_co_ci_u32_e64 v1, s0, s17, v8, s0
	s_clause 0x1
	global_store_b32 v[5:6], v19, off
	global_store_b32 v[13:14], v20, off
	;; [unrolled: 1-line block ×5, first 2 shown]
	s_and_b32 exec_lo, exec_lo, vcc_lo
	s_cbranch_execz .LBB0_25
; %bb.24:
	s_clause 0x3
	global_load_b32 v2, v[26:27], off offset:1920
	global_load_b32 v4, v[26:27], off offset:4320
	global_load_b32 v8, v[26:27], off offset:6720
	global_load_b32 v12, v[26:27], off offset:9120
	ds_load_b32 v3, v35 offset:1920
	ds_load_b32 v5, v35 offset:4320
	;; [unrolled: 1-line block ×4, first 2 shown]
	v_add_co_u32 v0, vcc_lo, v0, s4
	s_wait_alu 0xfffd
	v_add_co_ci_u32_e32 v1, vcc_lo, s5, v1, vcc_lo
	s_wait_dscnt 0x3
	v_lshrrev_b32_e32 v7, 16, v3
	s_wait_dscnt 0x2
	v_lshrrev_b32_e32 v11, 16, v5
	;; [unrolled: 2-line block ×4, first 2 shown]
	s_wait_loadcnt 0x3
	v_lshrrev_b32_e32 v9, 16, v2
	s_wait_loadcnt 0x2
	v_lshrrev_b32_e32 v16, 16, v4
	;; [unrolled: 2-line block ×4, first 2 shown]
	v_mul_f16_e32 v13, v7, v9
	v_mul_f16_e32 v9, v3, v9
	v_mul_f16_e32 v19, v11, v16
	s_delay_alu instid0(VALU_DEP_3) | instskip(NEXT) | instid1(VALU_DEP_3)
	v_fmac_f16_e32 v13, v3, v2
	v_fma_f16 v2, v2, v7, -v9
	v_mul_f16_e32 v7, v5, v16
	s_delay_alu instid0(VALU_DEP_4)
	v_fmac_f16_e32 v19, v5, v4
	v_mul_f16_e32 v9, v14, v17
	v_cvt_f32_f16_e32 v3, v13
	v_cvt_f32_f16_e32 v5, v2
	v_fma_f16 v7, v4, v11, -v7
	v_cvt_f32_f16_e32 v11, v19
	v_mul_f16_e32 v13, v6, v17
	v_cvt_f64_f32_e32 v[2:3], v3
	v_cvt_f64_f32_e32 v[4:5], v5
	v_fmac_f16_e32 v9, v6, v8
	v_cvt_f32_f16_e32 v17, v7
	v_cvt_f64_f32_e32 v[6:7], v11
	v_mul_f16_e32 v16, v15, v18
	v_fma_f16 v11, v8, v14, -v13
	v_cvt_f32_f16_e32 v13, v9
	v_cvt_f64_f32_e32 v[8:9], v17
	v_mul_f16_e32 v18, v10, v18
	v_fmac_f16_e32 v16, v10, v12
	v_cvt_f32_f16_e32 v14, v11
	v_cvt_f64_f32_e32 v[10:11], v13
	s_delay_alu instid0(VALU_DEP_4) | instskip(NEXT) | instid1(VALU_DEP_4)
	v_fma_f16 v15, v12, v15, -v18
	v_cvt_f32_f16_e32 v16, v16
	s_delay_alu instid0(VALU_DEP_4) | instskip(SKIP_1) | instid1(VALU_DEP_4)
	v_cvt_f64_f32_e32 v[12:13], v14
	v_add_co_u32 v18, vcc_lo, v0, s16
	v_cvt_f32_f16_e32 v17, v15
	s_delay_alu instid0(VALU_DEP_4)
	v_cvt_f64_f32_e32 v[14:15], v16
	s_wait_alu 0xfffd
	v_add_co_ci_u32_e32 v19, vcc_lo, s17, v1, vcc_lo
	v_add_co_u32 v20, vcc_lo, v18, s16
	v_cvt_f64_f32_e32 v[16:17], v17
	s_wait_alu 0xfffd
	s_delay_alu instid0(VALU_DEP_3)
	v_add_co_ci_u32_e32 v21, vcc_lo, s17, v19, vcc_lo
	v_mul_f64_e32 v[2:3], s[6:7], v[2:3]
	v_mul_f64_e32 v[4:5], s[6:7], v[4:5]
	;; [unrolled: 1-line block ×8, first 2 shown]
	v_and_or_b32 v2, 0x1ff, v3, v2
	v_and_or_b32 v4, 0x1ff, v5, v4
	v_lshrrev_b32_e32 v22, 8, v3
	v_bfe_u32 v23, v3, 20, 11
	v_and_or_b32 v6, 0x1ff, v7, v6
	v_cmp_ne_u32_e32 vcc_lo, 0, v2
	v_lshrrev_b32_e32 v24, 8, v5
	v_bfe_u32 v25, v5, 20, 11
	v_and_or_b32 v8, 0x1ff, v9, v8
	v_lshrrev_b32_e32 v26, 8, v7
	s_wait_alu 0xfffd
	v_cndmask_b32_e64 v2, 0, 1, vcc_lo
	v_cmp_ne_u32_e32 vcc_lo, 0, v4
	v_and_or_b32 v10, 0x1ff, v11, v10
	v_bfe_u32 v27, v7, 20, 11
	v_bfe_u32 v29, v9, 20, 11
	v_and_or_b32 v2, 0xffe, v22, v2
	s_wait_alu 0xfffd
	v_cndmask_b32_e64 v4, 0, 1, vcc_lo
	v_cmp_ne_u32_e32 vcc_lo, 0, v6
	v_and_or_b32 v12, 0x1ff, v13, v12
	v_sub_nc_u32_e32 v38, 0x3f1, v23
	v_and_or_b32 v14, 0x1ff, v15, v14
	v_add_nc_u32_e32 v23, 0xfffffc10, v23
	s_wait_alu 0xfffd
	v_cndmask_b32_e64 v6, 0, 1, vcc_lo
	v_cmp_ne_u32_e32 vcc_lo, 0, v8
	v_sub_nc_u32_e32 v39, 0x3f1, v25
	v_and_or_b32 v16, 0x1ff, v17, v16
	v_and_or_b32 v4, 0xffe, v24, v4
	v_lshrrev_b32_e32 v28, 8, v9
	s_wait_alu 0xfffd
	v_cndmask_b32_e64 v8, 0, 1, vcc_lo
	v_cmp_ne_u32_e32 vcc_lo, 0, v10
	v_bfe_u32 v31, v11, 20, 11
	v_bfe_u32 v33, v13, 20, 11
	v_add_nc_u32_e32 v25, 0xfffffc10, v25
	v_sub_nc_u32_e32 v40, 0x3f1, v27
	s_wait_alu 0xfffd
	v_cndmask_b32_e64 v10, 0, 1, vcc_lo
	v_cmp_ne_u32_e32 vcc_lo, 0, v12
	v_sub_nc_u32_e32 v41, 0x3f1, v29
	v_med3_i32 v22, v38, 0, 13
	v_med3_i32 v24, v39, 0, 13
	v_and_or_b32 v6, 0xffe, v26, v6
	s_wait_alu 0xfffd
	v_cndmask_b32_e64 v12, 0, 1, vcc_lo
	v_cmp_ne_u32_e32 vcc_lo, 0, v14
	v_or_b32_e32 v38, 0x1000, v2
	v_lshl_or_b32 v39, v23, 12, v2
	v_lshrrev_b32_e32 v30, 8, v11
	v_lshrrev_b32_e32 v32, 8, v13
	s_wait_alu 0xfffd
	v_cndmask_b32_e64 v14, 0, 1, vcc_lo
	v_cmp_ne_u32_e32 vcc_lo, 0, v16
	v_bfe_u32 v35, v15, 20, 11
	v_bfe_u32 v37, v17, 20, 11
	v_add_nc_u32_e32 v27, 0xfffffc10, v27
	v_sub_nc_u32_e32 v42, 0x3f1, v31
	s_wait_alu 0xfffd
	v_cndmask_b32_e64 v16, 0, 1, vcc_lo
	v_cmp_ne_u32_e32 vcc_lo, 0, v2
	v_sub_nc_u32_e32 v43, 0x3f1, v33
	v_med3_i32 v26, v40, 0, 13
	v_and_or_b32 v8, 0xffe, v28, v8
	v_med3_i32 v28, v41, 0, 13
	s_wait_alu 0xfffd
	v_cndmask_b32_e64 v2, 0, 1, vcc_lo
	v_cmp_ne_u32_e32 vcc_lo, 0, v4
	v_or_b32_e32 v40, 0x1000, v4
	v_lshl_or_b32 v41, v25, 12, v4
	v_lshrrev_b32_e32 v34, 8, v15
	v_lshrrev_b32_e32 v36, 8, v17
	s_wait_alu 0xfffd
	v_cndmask_b32_e64 v4, 0, 1, vcc_lo
	v_cmp_ne_u32_e32 vcc_lo, 0, v6
	v_add_nc_u32_e32 v29, 0xfffffc10, v29
	v_sub_nc_u32_e32 v44, 0x3f1, v35
	v_sub_nc_u32_e32 v45, 0x3f1, v37
	v_and_or_b32 v10, 0xffe, v30, v10
	v_med3_i32 v30, v42, 0, 13
	v_and_or_b32 v12, 0xffe, v32, v12
	v_med3_i32 v32, v43, 0, 13
	v_or_b32_e32 v42, 0x1000, v6
	v_lshl_or_b32 v43, v27, 12, v6
	s_wait_alu 0xfffd
	v_cndmask_b32_e64 v6, 0, 1, vcc_lo
	v_cmp_ne_u32_e32 vcc_lo, 0, v8
	v_add_nc_u32_e32 v31, 0xfffffc10, v31
	v_and_or_b32 v14, 0xffe, v34, v14
	v_med3_i32 v34, v44, 0, 13
	v_and_or_b32 v16, 0xffe, v36, v16
	v_med3_i32 v36, v45, 0, 13
	v_or_b32_e32 v44, 0x1000, v8
	v_lshl_or_b32 v45, v29, 12, v8
	s_wait_alu 0xfffd
	v_cndmask_b32_e64 v8, 0, 1, vcc_lo
	v_cmp_ne_u32_e32 vcc_lo, 0, v10
	v_add_nc_u32_e32 v33, 0xfffffc10, v33
	v_or_b32_e32 v46, 0x1000, v10
	v_lshl_or_b32 v47, v31, 12, v10
	v_add_nc_u32_e32 v35, 0xfffffc10, v35
	s_wait_alu 0xfffd
	v_cndmask_b32_e64 v10, 0, 1, vcc_lo
	v_cmp_ne_u32_e32 vcc_lo, 0, v12
	v_or_b32_e32 v48, 0x1000, v12
	v_lshl_or_b32 v49, v33, 12, v12
	v_lshrrev_b32_e32 v54, v22, v38
	v_add_nc_u32_e32 v37, 0xfffffc10, v37
	s_wait_alu 0xfffd
	v_cndmask_b32_e64 v12, 0, 1, vcc_lo
	v_cmp_ne_u32_e32 vcc_lo, 0, v14
	v_or_b32_e32 v50, 0x1000, v14
	v_lshl_or_b32 v51, v35, 12, v14
	v_lshrrev_b32_e32 v55, v24, v40
	v_lshlrev_b32_e32 v22, v22, v54
	s_wait_alu 0xfffd
	v_cndmask_b32_e64 v14, 0, 1, vcc_lo
	v_cmp_ne_u32_e32 vcc_lo, 0, v16
	v_or_b32_e32 v52, 0x1000, v16
	v_lshl_or_b32 v53, v37, 12, v16
	v_lshrrev_b32_e32 v56, v26, v42
	v_lshlrev_b32_e32 v24, v24, v55
	s_wait_alu 0xfffd
	v_cndmask_b32_e64 v16, 0, 1, vcc_lo
	v_cmp_ne_u32_e32 vcc_lo, v22, v38
	v_lshrrev_b32_e32 v57, v28, v44
	v_lshlrev_b32_e32 v26, v26, v56
	v_lshrrev_b32_e32 v58, v30, v46
	v_lshrrev_b32_e32 v59, v32, v48
	s_wait_alu 0xfffd
	v_cndmask_b32_e64 v22, 0, 1, vcc_lo
	v_cmp_ne_u32_e32 vcc_lo, v24, v40
	v_lshlrev_b32_e32 v28, v28, v57
	v_lshlrev_b32_e32 v30, v30, v58
	v_lshrrev_b32_e32 v60, v34, v50
	v_lshlrev_b32_e32 v32, v32, v59
	s_wait_alu 0xfffd
	v_cndmask_b32_e64 v24, 0, 1, vcc_lo
	v_cmp_ne_u32_e32 vcc_lo, v26, v42
	v_lshrrev_b32_e32 v61, v36, v52
	v_lshlrev_b32_e32 v34, v34, v60
	v_or_b32_e32 v22, v54, v22
	v_or_b32_e32 v24, v55, v24
	s_wait_alu 0xfffd
	v_cndmask_b32_e64 v26, 0, 1, vcc_lo
	v_cmp_ne_u32_e32 vcc_lo, v28, v44
	v_lshlrev_b32_e32 v36, v36, v61
	v_lshl_or_b32 v2, v2, 9, 0x7c00
	v_lshl_or_b32 v4, v4, 9, 0x7c00
	v_or_b32_e32 v26, v56, v26
	s_wait_alu 0xfffd
	v_cndmask_b32_e64 v28, 0, 1, vcc_lo
	v_cmp_ne_u32_e32 vcc_lo, v30, v46
	v_lshl_or_b32 v6, v6, 9, 0x7c00
	v_lshl_or_b32 v8, v8, 9, 0x7c00
	;; [unrolled: 1-line block ×3, first 2 shown]
	v_or_b32_e32 v28, v57, v28
	s_wait_alu 0xfffd
	v_cndmask_b32_e64 v30, 0, 1, vcc_lo
	v_cmp_ne_u32_e32 vcc_lo, v32, v48
	v_lshl_or_b32 v12, v12, 9, 0x7c00
	v_lshl_or_b32 v14, v14, 9, 0x7c00
	v_lshrrev_b32_e32 v3, 16, v3
	v_or_b32_e32 v30, v58, v30
	s_wait_alu 0xfffd
	v_cndmask_b32_e64 v32, 0, 1, vcc_lo
	v_cmp_ne_u32_e32 vcc_lo, v34, v50
	v_lshrrev_b32_e32 v7, 16, v7
	v_lshrrev_b32_e32 v11, 16, v11
	v_lshrrev_b32_e32 v5, 16, v5
	v_or_b32_e32 v32, v59, v32
	s_wait_alu 0xfffd
	v_cndmask_b32_e64 v34, 0, 1, vcc_lo
	v_cmp_ne_u32_e32 vcc_lo, v36, v52
	v_lshrrev_b32_e32 v9, 16, v9
	v_lshrrev_b32_e32 v15, 16, v15
	v_lshl_or_b32 v16, v16, 9, 0x7c00
	v_or_b32_e32 v34, v60, v34
	s_wait_alu 0xfffd
	v_cndmask_b32_e64 v36, 0, 1, vcc_lo
	v_cmp_gt_i32_e32 vcc_lo, 1, v23
	v_lshrrev_b32_e32 v13, 16, v13
	v_lshrrev_b32_e32 v17, 16, v17
	s_delay_alu instid0(VALU_DEP_4) | instskip(SKIP_3) | instid1(VALU_DEP_2)
	v_or_b32_e32 v36, v61, v36
	s_wait_alu 0xfffd
	v_cndmask_b32_e32 v22, v39, v22, vcc_lo
	v_cmp_gt_i32_e32 vcc_lo, 1, v25
	v_and_b32_e32 v38, 7, v22
	s_wait_alu 0xfffd
	v_cndmask_b32_e32 v24, v41, v24, vcc_lo
	v_cmp_gt_i32_e32 vcc_lo, 1, v27
	v_lshrrev_b32_e32 v22, 2, v22
	v_cmp_eq_u32_e64 s0, 3, v38
	s_wait_alu 0xfffd
	v_cndmask_b32_e32 v26, v43, v26, vcc_lo
	v_cmp_gt_i32_e32 vcc_lo, 1, v29
	s_delay_alu instid0(VALU_DEP_2)
	v_and_b32_e32 v40, 7, v26
	s_wait_alu 0xfffd
	v_cndmask_b32_e32 v28, v45, v28, vcc_lo
	v_cmp_gt_i32_e32 vcc_lo, 1, v31
	v_lshrrev_b32_e32 v26, 2, v26
	v_cmp_lt_i32_e64 s3, 5, v40
	v_cmp_eq_u32_e64 s4, 3, v40
	s_wait_alu 0xfffd
	v_cndmask_b32_e32 v30, v47, v30, vcc_lo
	v_cmp_gt_i32_e32 vcc_lo, 1, v33
	s_delay_alu instid0(VALU_DEP_2)
	v_and_b32_e32 v42, 7, v30
	s_wait_alu 0xfffd
	v_cndmask_b32_e32 v32, v49, v32, vcc_lo
	v_cmp_gt_i32_e32 vcc_lo, 1, v35
	v_lshrrev_b32_e32 v30, 2, v30
	v_cmp_lt_i32_e64 s7, 5, v42
	v_cmp_eq_u32_e64 s8, 3, v42
	s_wait_alu 0xfffd
	v_cndmask_b32_e32 v34, v51, v34, vcc_lo
	v_cmp_gt_i32_e32 vcc_lo, 1, v37
	s_delay_alu instid0(VALU_DEP_2)
	v_and_b32_e32 v44, 7, v34
	s_wait_alu 0xfffd
	v_cndmask_b32_e32 v36, v53, v36, vcc_lo
	v_cmp_lt_i32_e32 vcc_lo, 5, v38
	v_lshrrev_b32_e32 v34, 2, v34
	v_cmp_lt_i32_e64 s11, 5, v44
	v_cmp_eq_u32_e64 s12, 3, v44
	s_or_b32 vcc_lo, s0, vcc_lo
	s_wait_alu 0xfffe
	v_add_co_ci_u32_e32 v22, vcc_lo, 0, v22, vcc_lo
	v_and_b32_e32 v39, 7, v24
	v_lshrrev_b32_e32 v24, 2, v24
	s_delay_alu instid0(VALU_DEP_2) | instskip(SKIP_1) | instid1(VALU_DEP_1)
	v_cmp_lt_i32_e64 s1, 5, v39
	v_cmp_eq_u32_e64 s2, 3, v39
	s_or_b32 vcc_lo, s2, s1
	s_wait_alu 0xfffe
	v_add_co_ci_u32_e32 v24, vcc_lo, 0, v24, vcc_lo
	s_or_b32 vcc_lo, s4, s3
	s_wait_alu 0xfffe
	v_add_co_ci_u32_e32 v26, vcc_lo, 0, v26, vcc_lo
	v_and_b32_e32 v41, 7, v28
	v_lshrrev_b32_e32 v28, 2, v28
	s_delay_alu instid0(VALU_DEP_2) | instskip(SKIP_1) | instid1(VALU_DEP_1)
	v_cmp_lt_i32_e64 s5, 5, v41
	v_cmp_eq_u32_e64 s6, 3, v41
	s_or_b32 vcc_lo, s6, s5
	s_wait_alu 0xfffe
	v_add_co_ci_u32_e32 v28, vcc_lo, 0, v28, vcc_lo
	s_or_b32 vcc_lo, s8, s7
	;; [unrolled: 11-line block ×3, first 2 shown]
	s_wait_alu 0xfffe
	v_add_co_ci_u32_e32 v34, vcc_lo, 0, v34, vcc_lo
	v_and_b32_e32 v45, 7, v36
	v_lshrrev_b32_e32 v36, 2, v36
	s_delay_alu instid0(VALU_DEP_2) | instskip(SKIP_1) | instid1(VALU_DEP_1)
	v_cmp_lt_i32_e64 s13, 5, v45
	v_cmp_eq_u32_e64 s14, 3, v45
	s_or_b32 vcc_lo, s14, s13
	s_wait_alu 0xfffe
	v_add_co_ci_u32_e32 v36, vcc_lo, 0, v36, vcc_lo
	v_cmp_gt_i32_e32 vcc_lo, 31, v23
	s_wait_alu 0xfffd
	v_cndmask_b32_e32 v22, 0x7c00, v22, vcc_lo
	v_cmp_gt_i32_e32 vcc_lo, 31, v25
	s_wait_alu 0xfffd
	v_cndmask_b32_e32 v24, 0x7c00, v24, vcc_lo
	;; [unrolled: 3-line block ×8, first 2 shown]
	v_cmp_eq_u32_e32 vcc_lo, 0x40f, v23
	s_wait_alu 0xfffd
	v_cndmask_b32_e32 v2, v22, v2, vcc_lo
	v_cmp_eq_u32_e32 vcc_lo, 0x40f, v25
	s_delay_alu instid0(VALU_DEP_2) | instskip(SKIP_3) | instid1(VALU_DEP_2)
	v_and_or_b32 v2, 0x8000, v3, v2
	s_wait_alu 0xfffd
	v_cndmask_b32_e32 v4, v24, v4, vcc_lo
	v_cmp_eq_u32_e32 vcc_lo, 0x40f, v27
	v_and_or_b32 v4, 0x8000, v5, v4
	s_wait_alu 0xfffd
	v_cndmask_b32_e32 v6, v26, v6, vcc_lo
	v_cmp_eq_u32_e32 vcc_lo, 0x40f, v29
	s_delay_alu instid0(VALU_DEP_2) | instskip(SKIP_3) | instid1(VALU_DEP_2)
	v_and_or_b32 v3, 0x8000, v7, v6
	s_wait_alu 0xfffd
	v_cndmask_b32_e32 v8, v28, v8, vcc_lo
	v_cmp_eq_u32_e32 vcc_lo, 0x40f, v31
	v_and_or_b32 v5, 0x8000, v9, v8
	s_wait_alu 0xfffd
	v_cndmask_b32_e32 v10, v30, v10, vcc_lo
	v_cmp_eq_u32_e32 vcc_lo, 0x40f, v33
	s_delay_alu instid0(VALU_DEP_2)
	v_and_or_b32 v6, 0x8000, v11, v10
	s_wait_alu 0xfffd
	v_dual_cndmask_b32 v12, v32, v12 :: v_dual_and_b32 v11, 0xffff, v3
	v_cmp_eq_u32_e32 vcc_lo, 0x40f, v35
	v_and_b32_e32 v10, 0xffff, v2
	v_and_b32_e32 v6, 0xffff, v6
	s_delay_alu instid0(VALU_DEP_4)
	v_lshl_or_b32 v5, v5, 16, v11
	v_and_or_b32 v7, 0x8000, v13, v12
	s_wait_alu 0xfffd
	v_cndmask_b32_e32 v14, v34, v14, vcc_lo
	v_cmp_eq_u32_e32 vcc_lo, 0x40f, v37
	v_lshl_or_b32 v4, v4, 16, v10
	v_lshl_or_b32 v6, v7, 16, v6
	s_delay_alu instid0(VALU_DEP_4)
	v_and_or_b32 v8, 0x8000, v15, v14
	s_wait_alu 0xfffd
	v_cndmask_b32_e32 v16, v36, v16, vcc_lo
	v_add_co_u32 v2, vcc_lo, v20, s16
	s_wait_alu 0xfffd
	v_add_co_ci_u32_e32 v3, vcc_lo, s17, v21, vcc_lo
	s_delay_alu instid0(VALU_DEP_3) | instskip(SKIP_1) | instid1(VALU_DEP_1)
	v_and_or_b32 v9, 0x8000, v17, v16
	v_and_b32_e32 v8, 0xffff, v8
	v_lshl_or_b32 v7, v9, 16, v8
	global_store_b32 v[0:1], v4, off
	global_store_b32 v[18:19], v5, off
	;; [unrolled: 1-line block ×4, first 2 shown]
.LBB0_25:
	s_nop 0
	s_sendmsg sendmsg(MSG_DEALLOC_VGPRS)
	s_endpgm
	.section	.rodata,"a",@progbits
	.p2align	6, 0x0
	.amdhsa_kernel bluestein_single_fwd_len2400_dim1_half_op_CI_CI
		.amdhsa_group_segment_fixed_size 9600
		.amdhsa_private_segment_fixed_size 0
		.amdhsa_kernarg_size 104
		.amdhsa_user_sgpr_count 2
		.amdhsa_user_sgpr_dispatch_ptr 0
		.amdhsa_user_sgpr_queue_ptr 0
		.amdhsa_user_sgpr_kernarg_segment_ptr 1
		.amdhsa_user_sgpr_dispatch_id 0
		.amdhsa_user_sgpr_private_segment_size 0
		.amdhsa_wavefront_size32 1
		.amdhsa_uses_dynamic_stack 0
		.amdhsa_enable_private_segment 0
		.amdhsa_system_sgpr_workgroup_id_x 1
		.amdhsa_system_sgpr_workgroup_id_y 0
		.amdhsa_system_sgpr_workgroup_id_z 0
		.amdhsa_system_sgpr_workgroup_info 0
		.amdhsa_system_vgpr_workitem_id 0
		.amdhsa_next_free_vgpr 124
		.amdhsa_next_free_sgpr 18
		.amdhsa_reserve_vcc 1
		.amdhsa_float_round_mode_32 0
		.amdhsa_float_round_mode_16_64 0
		.amdhsa_float_denorm_mode_32 3
		.amdhsa_float_denorm_mode_16_64 3
		.amdhsa_fp16_overflow 0
		.amdhsa_workgroup_processor_mode 1
		.amdhsa_memory_ordered 1
		.amdhsa_forward_progress 0
		.amdhsa_round_robin_scheduling 0
		.amdhsa_exception_fp_ieee_invalid_op 0
		.amdhsa_exception_fp_denorm_src 0
		.amdhsa_exception_fp_ieee_div_zero 0
		.amdhsa_exception_fp_ieee_overflow 0
		.amdhsa_exception_fp_ieee_underflow 0
		.amdhsa_exception_fp_ieee_inexact 0
		.amdhsa_exception_int_div_zero 0
	.end_amdhsa_kernel
	.text
.Lfunc_end0:
	.size	bluestein_single_fwd_len2400_dim1_half_op_CI_CI, .Lfunc_end0-bluestein_single_fwd_len2400_dim1_half_op_CI_CI
                                        ; -- End function
	.section	.AMDGPU.csdata,"",@progbits
; Kernel info:
; codeLenInByte = 19988
; NumSgprs: 20
; NumVgprs: 124
; ScratchSize: 0
; MemoryBound: 0
; FloatMode: 240
; IeeeMode: 1
; LDSByteSize: 9600 bytes/workgroup (compile time only)
; SGPRBlocks: 2
; VGPRBlocks: 15
; NumSGPRsForWavesPerEU: 20
; NumVGPRsForWavesPerEU: 124
; Occupancy: 10
; WaveLimiterHint : 1
; COMPUTE_PGM_RSRC2:SCRATCH_EN: 0
; COMPUTE_PGM_RSRC2:USER_SGPR: 2
; COMPUTE_PGM_RSRC2:TRAP_HANDLER: 0
; COMPUTE_PGM_RSRC2:TGID_X_EN: 1
; COMPUTE_PGM_RSRC2:TGID_Y_EN: 0
; COMPUTE_PGM_RSRC2:TGID_Z_EN: 0
; COMPUTE_PGM_RSRC2:TIDIG_COMP_CNT: 0
	.text
	.p2alignl 7, 3214868480
	.fill 96, 4, 3214868480
	.type	__hip_cuid_6cb8d04e9940fb1e,@object ; @__hip_cuid_6cb8d04e9940fb1e
	.section	.bss,"aw",@nobits
	.globl	__hip_cuid_6cb8d04e9940fb1e
__hip_cuid_6cb8d04e9940fb1e:
	.byte	0                               ; 0x0
	.size	__hip_cuid_6cb8d04e9940fb1e, 1

	.ident	"AMD clang version 19.0.0git (https://github.com/RadeonOpenCompute/llvm-project roc-6.4.0 25133 c7fe45cf4b819c5991fe208aaa96edf142730f1d)"
	.section	".note.GNU-stack","",@progbits
	.addrsig
	.addrsig_sym __hip_cuid_6cb8d04e9940fb1e
	.amdgpu_metadata
---
amdhsa.kernels:
  - .args:
      - .actual_access:  read_only
        .address_space:  global
        .offset:         0
        .size:           8
        .value_kind:     global_buffer
      - .actual_access:  read_only
        .address_space:  global
        .offset:         8
        .size:           8
        .value_kind:     global_buffer
      - .actual_access:  read_only
        .address_space:  global
        .offset:         16
        .size:           8
        .value_kind:     global_buffer
      - .actual_access:  read_only
        .address_space:  global
        .offset:         24
        .size:           8
        .value_kind:     global_buffer
      - .actual_access:  read_only
        .address_space:  global
        .offset:         32
        .size:           8
        .value_kind:     global_buffer
      - .offset:         40
        .size:           8
        .value_kind:     by_value
      - .address_space:  global
        .offset:         48
        .size:           8
        .value_kind:     global_buffer
      - .address_space:  global
        .offset:         56
        .size:           8
        .value_kind:     global_buffer
      - .address_space:  global
        .offset:         64
        .size:           8
        .value_kind:     global_buffer
      - .address_space:  global
        .offset:         72
        .size:           8
        .value_kind:     global_buffer
      - .offset:         80
        .size:           4
        .value_kind:     by_value
      - .address_space:  global
        .offset:         88
        .size:           8
        .value_kind:     global_buffer
      - .address_space:  global
        .offset:         96
        .size:           8
        .value_kind:     global_buffer
    .group_segment_fixed_size: 9600
    .kernarg_segment_align: 8
    .kernarg_segment_size: 104
    .language:       OpenCL C
    .language_version:
      - 2
      - 0
    .max_flat_workgroup_size: 240
    .name:           bluestein_single_fwd_len2400_dim1_half_op_CI_CI
    .private_segment_fixed_size: 0
    .sgpr_count:     20
    .sgpr_spill_count: 0
    .symbol:         bluestein_single_fwd_len2400_dim1_half_op_CI_CI.kd
    .uniform_work_group_size: 1
    .uses_dynamic_stack: false
    .vgpr_count:     124
    .vgpr_spill_count: 0
    .wavefront_size: 32
    .workgroup_processor_mode: 1
amdhsa.target:   amdgcn-amd-amdhsa--gfx1201
amdhsa.version:
  - 1
  - 2
...

	.end_amdgpu_metadata
